;; amdgpu-corpus repo=ROCm/rocFFT kind=compiled arch=gfx1201 opt=O3
	.text
	.amdgcn_target "amdgcn-amd-amdhsa--gfx1201"
	.amdhsa_code_object_version 6
	.protected	bluestein_single_fwd_len5488_dim1_half_op_CI_CI ; -- Begin function bluestein_single_fwd_len5488_dim1_half_op_CI_CI
	.globl	bluestein_single_fwd_len5488_dim1_half_op_CI_CI
	.p2align	8
	.type	bluestein_single_fwd_len5488_dim1_half_op_CI_CI,@function
bluestein_single_fwd_len5488_dim1_half_op_CI_CI: ; @bluestein_single_fwd_len5488_dim1_half_op_CI_CI
; %bb.0:
	s_load_b128 s[16:19], s[0:1], 0x28
	v_mul_u32_u24_e32 v1, 0x14f, v0
	s_mov_b32 s2, exec_lo
	v_mov_b32_e32 v140, 0
	s_delay_alu instid0(VALU_DEP_2) | instskip(NEXT) | instid1(VALU_DEP_1)
	v_lshrrev_b32_e32 v1, 16, v1
	v_add_nc_u32_e32 v139, ttmp9, v1
	s_wait_kmcnt 0x0
	s_delay_alu instid0(VALU_DEP_1)
	v_cmpx_gt_u64_e64 s[16:17], v[139:140]
	s_cbranch_execz .LBB0_2
; %bb.1:
	s_clause 0x1
	s_load_b128 s[8:11], s[0:1], 0x18
	s_load_b128 s[4:7], s[0:1], 0x0
	v_mul_lo_u16 v1, 0xc4, v1
	s_load_b64 s[0:1], s[0:1], 0x38
	s_delay_alu instid0(VALU_DEP_1) | instskip(NEXT) | instid1(VALU_DEP_1)
	v_sub_nc_u16 v12, v0, v1
	v_and_b32_e32 v156, 0xffff, v12
	s_wait_kmcnt 0x0
	s_load_b128 s[12:15], s[8:9], 0x0
	s_wait_kmcnt 0x0
	v_mad_co_u64_u32 v[0:1], null, s14, v139, 0
	v_mad_co_u64_u32 v[2:3], null, s12, v156, 0
	s_mul_u64 s[2:3], s[12:13], 0xc40
	s_delay_alu instid0(VALU_DEP_1) | instskip(SKIP_4) | instid1(VALU_DEP_1)
	v_mad_co_u64_u32 v[4:5], null, s15, v139, v[1:2]
	s_movk_i32 s14, 0xb990
	s_mov_b32 s15, -1
	s_wait_alu 0xfffe
	s_mul_u64 s[8:9], s[12:13], s[14:15]
	v_mov_b32_e32 v1, v4
	v_mad_co_u64_u32 v[5:6], null, s13, v156, v[3:4]
	v_lshlrev_b32_e32 v154, 2, v156
	s_clause 0x1
	global_load_b32 v153, v154, s[4:5]
	global_load_b32 v144, v154, s[4:5] offset:6272
	v_mov_b32_e32 v3, v5
	v_lshlrev_b64_e32 v[0:1], 2, v[0:1]
	global_load_b32 v149, v154, s[4:5] offset:3136
	v_add_nc_u32_e32 v124, 0x600, v154
	v_add_nc_u32_e32 v162, 0xc00, v154
	v_lshlrev_b64_e32 v[2:3], 2, v[2:3]
	v_add_nc_u32_e32 v150, 0x4900, v154
	v_add_co_u32 v0, vcc_lo, s18, v0
	v_add_co_ci_u32_e32 v1, vcc_lo, s19, v1, vcc_lo
	v_add_nc_u32_e32 v161, 0x1800, v154
	s_delay_alu instid0(VALU_DEP_3) | instskip(SKIP_1) | instid1(VALU_DEP_3)
	v_add_co_u32 v0, vcc_lo, v0, v2
	s_wait_alu 0xfffd
	v_add_co_ci_u32_e32 v1, vcc_lo, v1, v3, vcc_lo
	v_add_nc_u32_e32 v155, 0x3d00, v154
	v_add_nc_u32_e32 v160, 0x2400, v154
	;; [unrolled: 1-line block ×3, first 2 shown]
	global_load_b32 v2, v[0:1], off
	v_add_co_u32 v0, vcc_lo, v0, s2
	s_wait_alu 0xfffd
	v_add_co_ci_u32_e32 v1, vcc_lo, s3, v1, vcc_lo
	v_add_nc_u32_e32 v128, 0x1200, v154
	s_delay_alu instid0(VALU_DEP_3) | instskip(SKIP_1) | instid1(VALU_DEP_3)
	v_add_co_u32 v5, vcc_lo, v0, s2
	s_wait_alu 0xfffd
	v_add_co_ci_u32_e32 v6, vcc_lo, s3, v1, vcc_lo
	global_load_b32 v3, v[0:1], off
	global_load_b32 v142, v154, s[4:5] offset:9408
	global_load_b32 v4, v[5:6], off
	v_add_co_u32 v5, vcc_lo, v5, s2
	s_wait_alu 0xfffd
	v_add_co_ci_u32_e32 v6, vcc_lo, s3, v6, vcc_lo
	v_add_nc_u32_e32 v127, 0x1e00, v154
	v_add_nc_u32_e32 v138, 0x2a00, v154
	;; [unrolled: 1-line block ×3, first 2 shown]
	global_load_b32 v0, v[5:6], off
	v_add_co_u32 v5, vcc_lo, v5, s2
	s_wait_alu 0xfffd
	v_add_co_ci_u32_e32 v6, vcc_lo, s3, v6, vcc_lo
	global_load_b32 v117, v154, s[4:5] offset:12544
	global_load_b32 v1, v[5:6], off
	v_add_co_u32 v5, vcc_lo, v5, s2
	s_wait_alu 0xfffd
	v_add_co_ci_u32_e32 v6, vcc_lo, s3, v6, vcc_lo
	s_clause 0x8
	global_load_b32 v130, v154, s[4:5] offset:7056
	global_load_b32 v31, v154, s[4:5] offset:7840
	;; [unrolled: 1-line block ×9, first 2 shown]
	v_add_co_u32 v7, vcc_lo, v5, s2
	s_wait_alu 0xfffd
	v_add_co_ci_u32_e32 v8, vcc_lo, s3, v6, vcc_lo
	global_load_b32 v29, v154, s[4:5] offset:2352
	v_add_co_u32 v9, vcc_lo, v7, s8
	s_wait_alu 0xfffd
	v_add_co_ci_u32_e32 v10, vcc_lo, s9, v8, vcc_lo
	s_clause 0x3
	global_load_b32 v38, v154, s[4:5] offset:10192
	global_load_b32 v28, v154, s[4:5] offset:10976
	;; [unrolled: 1-line block ×4, first 2 shown]
	global_load_b32 v11, v[5:6], off
	global_load_b32 v7, v[7:8], off
	;; [unrolled: 1-line block ×3, first 2 shown]
	s_clause 0x8
	global_load_b32 v36, v154, s[4:5] offset:16464
	global_load_b32 v26, v154, s[4:5] offset:17248
	;; [unrolled: 1-line block ×9, first 2 shown]
	v_add_co_u32 v5, vcc_lo, v9, s2
	s_wait_alu 0xfffd
	v_add_co_ci_u32_e32 v6, vcc_lo, s3, v10, vcc_lo
	v_add_nc_u32_e32 v194, 0x4300, v154
	v_add_nc_u32_e32 v116, 0x4f00, v154
	s_wait_loadcnt 0x23
	v_lshrrev_b32_e32 v14, 16, v153
	s_wait_loadcnt 0x22
	v_lshrrev_b32_e32 v16, 16, v144
	s_wait_loadcnt 0x21
	v_lshrrev_b32_e32 v18, 16, v149
	s_wait_loadcnt 0x20
	v_lshrrev_b32_e32 v13, 16, v2
	v_mul_f16_e32 v9, v14, v2
	s_delay_alu instid0(VALU_DEP_2) | instskip(NEXT) | instid1(VALU_DEP_2)
	v_mul_f16_e32 v10, v14, v13
	v_fma_f16 v9, v153, v13, -v9
	s_wait_loadcnt 0x1f
	v_lshrrev_b32_e32 v14, 16, v3
	v_mul_f16_e32 v15, v18, v3
	v_fmac_f16_e64 v10, v153, v2
	s_wait_loadcnt 0x1d
	v_lshrrev_b32_e32 v13, 16, v4
	v_lshrrev_b32_e32 v17, 16, v142
	v_mul_f16_e32 v2, v18, v14
	v_fma_f16 v14, v149, v14, -v15
	v_mul_f16_e32 v15, v16, v4
	v_pack_b32_f16 v9, v10, v9
	s_delay_alu instid0(VALU_DEP_4)
	v_fmac_f16_e64 v2, v149, v3
	v_mul_f16_e32 v3, v16, v13
	s_wait_loadcnt 0x1c
	v_lshrrev_b32_e32 v10, 16, v0
	v_fma_f16 v13, v144, v13, -v15
	v_mul_f16_e32 v16, v17, v0
	v_pack_b32_f16 v2, v2, v14
	v_fmac_f16_e64 v3, v144, v4
	v_mul_f16_e32 v4, v17, v10
	s_wait_loadcnt 0x1b
	v_lshrrev_b32_e32 v14, 16, v117
	v_fma_f16 v10, v142, v10, -v16
	s_wait_loadcnt 0x15
	v_lshrrev_b32_e32 v17, 16, v145
	v_pack_b32_f16 v3, v3, v13
	v_fmac_f16_e64 v4, v142, v0
	v_lshrrev_b32_e32 v0, 16, v1
	v_mul_f16_e32 v13, v14, v1
	s_wait_loadcnt 0x13
	v_lshrrev_b32_e32 v32, 16, v141
	v_pack_b32_f16 v4, v4, v10
	s_delay_alu instid0(VALU_DEP_3) | instskip(SKIP_4) | instid1(VALU_DEP_3)
	v_fma_f16 v13, v117, v0, -v13
	v_mul_f16_e32 v0, v14, v0
	s_wait_loadcnt 0x3
	v_lshrrev_b32_e32 v16, 16, v123
	v_lshrrev_b32_e32 v15, 16, v140
	v_fmac_f16_e32 v0, v117, v1
	v_lshrrev_b32_e32 v1, 16, v11
	s_delay_alu instid0(VALU_DEP_3) | instskip(NEXT) | instid1(VALU_DEP_3)
	v_mul_f16_e32 v14, v15, v11
	v_pack_b32_f16 v0, v0, v13
	s_delay_alu instid0(VALU_DEP_2) | instskip(SKIP_2) | instid1(VALU_DEP_2)
	v_fma_f16 v14, v140, v1, -v14
	v_mul_f16_e32 v1, v15, v1
	v_mul_f16_e32 v15, v16, v7
	v_fmac_f16_e64 v1, v140, v11
	v_lshrrev_b32_e32 v11, 16, v7
	s_delay_alu instid0(VALU_DEP_2) | instskip(NEXT) | instid1(VALU_DEP_2)
	v_pack_b32_f16 v1, v1, v14
	v_fma_f16 v15, v123, v11, -v15
	v_mul_f16_e32 v11, v16, v11
	v_mul_f16_e32 v16, v17, v8
	s_delay_alu instid0(VALU_DEP_2) | instskip(SKIP_1) | instid1(VALU_DEP_1)
	v_fmac_f16_e32 v11, v123, v7
	v_lshrrev_b32_e32 v7, 16, v8
	v_fma_f16 v16, v145, v7, -v16
	v_mul_f16_e32 v7, v17, v7
	s_delay_alu instid0(VALU_DEP_1) | instskip(SKIP_1) | instid1(VALU_DEP_2)
	v_fmac_f16_e64 v7, v145, v8
	v_pack_b32_f16 v8, v11, v15
	v_pack_b32_f16 v7, v7, v16
	ds_store_b32 v154, v2 offset:3136
	ds_store_b32 v154, v3 offset:6272
	;; [unrolled: 1-line block ×6, first 2 shown]
	ds_store_2addr_b32 v154, v9, v7 offset1:196
	v_add_co_u32 v0, vcc_lo, v5, s2
	s_wait_alu 0xfffd
	v_add_co_ci_u32_e32 v1, vcc_lo, s3, v6, vcc_lo
	global_load_b32 v17, v[5:6], off
	v_add_co_u32 v2, vcc_lo, v0, s2
	s_wait_alu 0xfffd
	v_add_co_ci_u32_e32 v3, vcc_lo, s3, v1, vcc_lo
	s_delay_alu instid0(VALU_DEP_2) | instskip(SKIP_1) | instid1(VALU_DEP_2)
	v_add_co_u32 v4, vcc_lo, v2, s2
	s_wait_alu 0xfffd
	v_add_co_ci_u32_e32 v5, vcc_lo, s3, v3, vcc_lo
	s_delay_alu instid0(VALU_DEP_2) | instskip(SKIP_1) | instid1(VALU_DEP_2)
	v_add_co_u32 v6, vcc_lo, v4, s2
	s_wait_alu 0xfffd
	v_add_co_ci_u32_e32 v7, vcc_lo, s3, v5, vcc_lo
	global_load_b32 v4, v[4:5], off
	v_add_co_u32 v8, vcc_lo, v6, s2
	s_wait_alu 0xfffd
	v_add_co_ci_u32_e32 v9, vcc_lo, s3, v7, vcc_lo
	s_delay_alu instid0(VALU_DEP_2) | instskip(SKIP_1) | instid1(VALU_DEP_2)
	v_add_co_u32 v10, vcc_lo, v8, s8
	s_wait_alu 0xfffd
	v_add_co_ci_u32_e32 v11, vcc_lo, s9, v9, vcc_lo
	s_delay_alu instid0(VALU_DEP_2) | instskip(SKIP_1) | instid1(VALU_DEP_2)
	v_add_co_u32 v13, vcc_lo, v10, s2
	s_wait_alu 0xfffd
	v_add_co_ci_u32_e32 v14, vcc_lo, s3, v11, vcc_lo
	s_delay_alu instid0(VALU_DEP_2)
	v_add_co_u32 v15, vcc_lo, v13, s2
	global_load_b32 v13, v[13:14], off
	s_wait_alu 0xfffd
	v_add_co_ci_u32_e32 v16, vcc_lo, s3, v14, vcc_lo
	s_wait_loadcnt 0x2
	v_lshrrev_b32_e32 v14, 16, v17
	v_mul_f16_e32 v18, v32, v17
	s_delay_alu instid0(VALU_DEP_1) | instskip(SKIP_2) | instid1(VALU_DEP_2)
	v_fma_f16 v18, v141, v14, -v18
	v_mul_f16_e32 v14, v32, v14
	v_mov_b32_e32 v32, v19
	v_fmac_f16_e64 v14, v141, v17
	s_delay_alu instid0(VALU_DEP_2) | instskip(SKIP_4) | instid1(VALU_DEP_1)
	v_lshrrev_b32_e32 v33, 16, v32
	scratch_store_b32 off, v33, off offset:100 ; 4-byte Folded Spill
	s_wait_loadcnt 0x0
	v_lshrrev_b32_e32 v17, 16, v13
	v_mul_f16_e32 v19, v33, v13
	v_fma_f16 v19, v32, v17, -v19
	v_mul_f16_e32 v17, v33, v17
	s_delay_alu instid0(VALU_DEP_1) | instskip(SKIP_2) | instid1(VALU_DEP_3)
	v_fmac_f16_e32 v17, v32, v13
	v_pack_b32_f16 v13, v14, v18
	v_lshrrev_b32_e32 v18, 16, v31
	v_pack_b32_f16 v14, v17, v19
	v_add_nc_u32_e32 v17, 0xf00, v154
	ds_store_2addr_b32 v17, v13, v14 offset0:20 offset1:216
	global_load_b32 v13, v[0:1], off
	global_load_b32 v14, v[15:16], off
	v_lshrrev_b32_e32 v17, 16, v130
	v_add_co_u32 v0, vcc_lo, v15, s2
	s_wait_alu 0xfffd
	v_add_co_ci_u32_e32 v1, vcc_lo, s3, v16, vcc_lo
	s_wait_loadcnt 0x1
	v_lshrrev_b32_e32 v15, 16, v13
	v_mul_f16_e32 v16, v17, v13
	s_delay_alu instid0(VALU_DEP_1) | instskip(SKIP_3) | instid1(VALU_DEP_2)
	v_fma_f16 v16, v130, v15, -v16
	v_mul_f16_e32 v15, v17, v15
	s_wait_loadcnt 0x0
	v_mul_f16_e32 v17, v18, v14
	v_fmac_f16_e64 v15, v130, v13
	v_lshrrev_b32_e32 v13, 16, v14
	s_delay_alu instid0(VALU_DEP_1) | instskip(SKIP_1) | instid1(VALU_DEP_1)
	v_fma_f16 v17, v31, v13, -v17
	v_mul_f16_e32 v13, v18, v13
	v_fmac_f16_e32 v13, v31, v14
	v_pack_b32_f16 v14, v15, v16
	v_add_nc_u32_e32 v15, 0x1b00, v154
	v_lshrrev_b32_e32 v16, 16, v28
	s_delay_alu instid0(VALU_DEP_4)
	v_pack_b32_f16 v13, v13, v17
	ds_store_2addr_b32 v15, v14, v13 offset0:36 offset1:232
	global_load_b32 v13, v[2:3], off
	v_add_co_u32 v2, vcc_lo, v0, s2
	global_load_b32 v0, v[0:1], off
	v_lshrrev_b32_e32 v15, 16, v38
	s_wait_alu 0xfffd
	v_add_co_ci_u32_e32 v3, vcc_lo, s3, v1, vcc_lo
	scratch_store_b32 off, v15, off offset:140 ; 4-byte Folded Spill
	s_wait_loadcnt 0x1
	v_lshrrev_b32_e32 v1, 16, v13
	v_mul_f16_e32 v14, v15, v13
	s_delay_alu instid0(VALU_DEP_1) | instskip(SKIP_3) | instid1(VALU_DEP_2)
	v_fma_f16 v14, v38, v1, -v14
	v_mul_f16_e32 v1, v15, v1
	s_wait_loadcnt 0x0
	v_mul_f16_e32 v15, v16, v0
	v_fmac_f16_e32 v1, v38, v13
	v_lshrrev_b32_e32 v13, 16, v0
	s_delay_alu instid0(VALU_DEP_1) | instskip(SKIP_1) | instid1(VALU_DEP_1)
	v_fma_f16 v15, v28, v13, -v15
	v_mul_f16_e32 v13, v16, v13
	v_fmac_f16_e32 v13, v28, v0
	v_pack_b32_f16 v0, v1, v14
	v_lshrrev_b32_e32 v14, 16, v27
	s_delay_alu instid0(VALU_DEP_3)
	v_pack_b32_f16 v1, v13, v15
	v_add_nc_u32_e32 v13, 0x2700, v154
	ds_store_2addr_b32 v13, v0, v1 offset0:52 offset1:248
	v_add_co_u32 v0, vcc_lo, v2, s2
	global_load_b32 v2, v[2:3], off
	v_lshrrev_b32_e32 v13, 16, v37
	s_wait_alu 0xfffd
	v_add_co_ci_u32_e32 v1, vcc_lo, s3, v3, vcc_lo
	v_lshrrev_b32_e32 v3, 16, v4
	s_delay_alu instid0(VALU_DEP_3) | instskip(SKIP_3) | instid1(VALU_DEP_1)
	v_mul_f16_e32 v5, v13, v4
	scratch_store_b32 off, v13, off offset:132 ; 4-byte Folded Spill
	v_fma_f16 v5, v37, v3, -v5
	v_mul_f16_e32 v3, v13, v3
	v_fmac_f16_e32 v3, v37, v4
	s_wait_loadcnt 0x0
	v_lshrrev_b32_e32 v4, 16, v2
	v_mul_f16_e32 v13, v14, v2
	s_delay_alu instid0(VALU_DEP_1) | instskip(SKIP_1) | instid1(VALU_DEP_1)
	v_fma_f16 v13, v27, v4, -v13
	v_mul_f16_e32 v4, v14, v4
	v_fmac_f16_e32 v4, v27, v2
	v_pack_b32_f16 v2, v3, v5
	s_delay_alu instid0(VALU_DEP_2)
	v_pack_b32_f16 v3, v4, v13
	v_add_nc_u32_e32 v4, 0x3400, v154
	v_lshrrev_b32_e32 v13, 16, v20
	ds_store_2addr_b32 v4, v2, v3 offset0:4 offset1:200
	global_load_b32 v4, v[6:7], off
	v_add_co_u32 v2, vcc_lo, v0, s2
	global_load_b32 v0, v[0:1], off
	v_lshrrev_b32_e32 v6, 16, v36
	s_wait_alu 0xfffd
	v_add_co_ci_u32_e32 v3, vcc_lo, s3, v1, vcc_lo
	v_lshrrev_b32_e32 v7, 16, v26
	s_clause 0x6
	scratch_store_b32 off, v38, off offset:136
	scratch_store_b32 off, v6, off offset:124
	;; [unrolled: 1-line block ×7, first 2 shown]
	s_wait_loadcnt 0x1
	v_lshrrev_b32_e32 v1, 16, v4
	v_mul_f16_e32 v5, v6, v4
	s_delay_alu instid0(VALU_DEP_1) | instskip(SKIP_3) | instid1(VALU_DEP_2)
	v_fma_f16 v5, v36, v1, -v5
	v_mul_f16_e32 v1, v6, v1
	s_wait_loadcnt 0x0
	v_mul_f16_e32 v6, v7, v0
	v_fmac_f16_e32 v1, v36, v4
	v_lshrrev_b32_e32 v4, 16, v0
	s_delay_alu instid0(VALU_DEP_1)
	v_fma_f16 v6, v26, v4, -v6
	v_mul_f16_e32 v4, v7, v4
	v_lshrrev_b32_e32 v7, 16, v30
	scratch_store_b32 off, v30, off offset:48 ; 4-byte Folded Spill
	v_fmac_f16_e32 v4, v26, v0
	scratch_store_b32 off, v7, off offset:52 ; 4-byte Folded Spill
	v_pack_b32_f16 v0, v1, v5
	v_pack_b32_f16 v1, v4, v6
	v_add_nc_u32_e32 v4, 0x4000, v154
	v_lshrrev_b32_e32 v6, 16, v35
	s_clause 0x2
	scratch_store_b32 off, v35, off offset:112
	scratch_store_b32 off, v37, off offset:128
	;; [unrolled: 1-line block ×3, first 2 shown]
	ds_store_2addr_b32 v4, v0, v1 offset0:20 offset1:216
	scratch_store_b32 off, v6, off offset:116 ; 4-byte Folded Spill
	global_load_b32 v4, v[8:9], off
	v_add_co_u32 v0, vcc_lo, v2, s8
	global_load_b32 v2, v[2:3], off
	s_wait_alu 0xfffd
	v_add_co_ci_u32_e32 v1, vcc_lo, s9, v3, vcc_lo
	v_lshrrev_b32_e32 v8, 16, v25
	v_lshrrev_b32_e32 v9, 16, v23
	s_wait_loadcnt 0x1
	v_lshrrev_b32_e32 v3, 16, v4
	v_mul_f16_e32 v5, v6, v4
	s_delay_alu instid0(VALU_DEP_1) | instskip(SKIP_3) | instid1(VALU_DEP_2)
	v_fma_f16 v5, v35, v3, -v5
	v_mul_f16_e32 v3, v6, v3
	s_wait_loadcnt 0x0
	v_mul_f16_e32 v6, v7, v2
	v_fmac_f16_e32 v3, v35, v4
	v_lshrrev_b32_e32 v4, 16, v2
	s_delay_alu instid0(VALU_DEP_1)
	v_fma_f16 v6, v30, v4, -v6
	v_mul_f16_e32 v4, v7, v4
	v_lshrrev_b32_e32 v7, 16, v29
	s_clause 0x5
	scratch_store_b32 off, v29, off offset:56
	scratch_store_b32 off, v31, off offset:88
	scratch_store_b32 off, v28, off offset:80
	scratch_store_b32 off, v27, off offset:72
	scratch_store_b32 off, v26, off offset:64
	scratch_store_b32 off, v7, off offset:60
	v_fmac_f16_e32 v4, v30, v2
	v_pack_b32_f16 v2, v3, v5
	s_delay_alu instid0(VALU_DEP_2)
	v_pack_b32_f16 v3, v4, v6
	v_add_nc_u32_e32 v4, 0x4c00, v154
	v_lshrrev_b32_e32 v6, 16, v34
	scratch_store_b32 off, v34, off offset:104 ; 4-byte Folded Spill
	ds_store_2addr_b32 v4, v2, v3 offset0:36 offset1:232
	scratch_store_b32 off, v6, off offset:108 ; 4-byte Folded Spill
	global_load_b32 v4, v[10:11], off
	v_add_co_u32 v2, vcc_lo, v0, s2
	global_load_b32 v0, v[0:1], off
	s_wait_alu 0xfffd
	v_add_co_ci_u32_e32 v3, vcc_lo, s3, v1, vcc_lo
	v_lshrrev_b32_e32 v10, 16, v22
	v_lshrrev_b32_e32 v11, 16, v21
	s_wait_loadcnt 0x1
	v_lshrrev_b32_e32 v1, 16, v4
	v_mul_f16_e32 v5, v6, v4
	s_delay_alu instid0(VALU_DEP_1) | instskip(SKIP_3) | instid1(VALU_DEP_2)
	v_fma_f16 v5, v34, v1, -v5
	v_mul_f16_e32 v1, v6, v1
	s_wait_loadcnt 0x0
	v_mul_f16_e32 v6, v7, v0
	v_fmac_f16_e32 v1, v34, v4
	v_lshrrev_b32_e32 v4, 16, v0
	s_delay_alu instid0(VALU_DEP_1) | instskip(SKIP_1) | instid1(VALU_DEP_1)
	v_fma_f16 v6, v29, v4, -v6
	v_mul_f16_e32 v4, v7, v4
	v_fmac_f16_e32 v4, v29, v0
	v_pack_b32_f16 v0, v1, v5
	s_delay_alu instid0(VALU_DEP_2)
	v_pack_b32_f16 v1, v4, v6
	global_load_b32 v4, v[2:3], off
	ds_store_2addr_b32 v124, v0, v1 offset0:8 offset1:204
	v_add_co_u32 v0, vcc_lo, v2, s2
	s_wait_alu 0xfffd
	v_add_co_ci_u32_e32 v1, vcc_lo, s3, v3, vcc_lo
	s_delay_alu instid0(VALU_DEP_2)
	v_add_co_u32 v2, vcc_lo, v0, s2
	global_load_b32 v5, v[0:1], off
	s_wait_alu 0xfffd
	v_add_co_ci_u32_e32 v3, vcc_lo, s3, v1, vcc_lo
	v_add_co_u32 v0, vcc_lo, v2, s2
	global_load_b32 v6, v[2:3], off
	s_wait_alu 0xfffd
	v_add_co_ci_u32_e32 v1, vcc_lo, s3, v3, vcc_lo
	;; [unrolled: 4-line block ×3, first 2 shown]
	v_add_co_u32 v0, vcc_lo, v2, s2
	s_wait_alu 0xfffd
	s_delay_alu instid0(VALU_DEP_2)
	v_add_co_ci_u32_e32 v1, vcc_lo, s3, v3, vcc_lo
	global_load_b32 v2, v[2:3], off
	global_load_b32 v0, v[0:1], off
	s_clause 0x8
	scratch_store_b32 off, v8, off offset:44
	scratch_store_b32 off, v9, off offset:28
	scratch_store_b32 off, v20, off
	scratch_store_b32 off, v13, off offset:4
	scratch_store_b32 off, v21, off offset:8
	;; [unrolled: 1-line block ×6, first 2 shown]
	s_wait_loadcnt 0x5
	v_lshrrev_b32_e32 v1, 16, v4
	v_mul_f16_e32 v3, v8, v4
	s_delay_alu instid0(VALU_DEP_1)
	v_fma_f16 v3, v25, v1, -v3
	v_mul_f16_e32 v1, v8, v1
	v_lshrrev_b32_e32 v8, 16, v24
	s_clause 0x1
	scratch_store_b32 off, v24, off offset:32
	scratch_store_b32 off, v25, off offset:40
	v_fmac_f16_e32 v1, v25, v4
	scratch_store_b32 off, v8, off offset:36 ; 4-byte Folded Spill
	s_wait_loadcnt 0x4
	v_mul_f16_e32 v4, v8, v5
	v_pack_b32_f16 v1, v1, v3
	v_lshrrev_b32_e32 v3, 16, v5
	s_delay_alu instid0(VALU_DEP_1) | instskip(SKIP_3) | instid1(VALU_DEP_2)
	v_fma_f16 v4, v24, v3, -v4
	v_mul_f16_e32 v3, v8, v3
	s_wait_loadcnt 0x3
	v_mul_f16_e32 v8, v9, v6
	v_fmac_f16_e32 v3, v24, v5
	v_lshrrev_b32_e32 v5, 16, v6
	s_delay_alu instid0(VALU_DEP_1) | instskip(SKIP_3) | instid1(VALU_DEP_2)
	v_fma_f16 v8, v23, v5, -v8
	v_mul_f16_e32 v5, v9, v5
	s_wait_loadcnt 0x2
	v_mul_f16_e32 v9, v10, v7
	v_fmac_f16_e32 v5, v23, v6
	;; [unrolled: 7-line block ×4, first 2 shown]
	v_lshrrev_b32_e32 v2, 16, v0
	s_delay_alu instid0(VALU_DEP_1) | instskip(SKIP_1) | instid1(VALU_DEP_1)
	v_fma_f16 v11, v20, v2, -v11
	v_mul_f16_e32 v2, v13, v2
	v_fmac_f16_e32 v2, v20, v0
	v_pack_b32_f16 v0, v3, v4
	v_pack_b32_f16 v3, v5, v8
	;; [unrolled: 1-line block ×5, first 2 shown]
	ds_store_b32 v154, v1 offset:5488
	ds_store_b32 v154, v0 offset:8624
	;; [unrolled: 1-line block ×6, first 2 shown]
	s_load_b128 s[8:11], s[10:11], 0x0
	global_wb scope:SCOPE_SE
	s_wait_storecnt_dscnt 0x0
	s_wait_kmcnt 0x0
	s_barrier_signal -1
	s_barrier_wait -1
	global_inv scope:SCOPE_SE
	ds_load_2addr_b32 v[0:1], v162 offset0:16 offset1:212
	ds_load_2addr_b32 v[2:3], v150 offset0:32 offset1:228
	;; [unrolled: 1-line block ×3, first 2 shown]
	ds_load_2addr_b32 v[8:9], v158 offset1:196
	s_wait_dscnt 0x3
	v_lshrrev_b32_e32 v4, 16, v0
	s_wait_dscnt 0x2
	v_lshrrev_b32_e32 v5, 16, v2
	;; [unrolled: 2-line block ×4, first 2 shown]
	v_add_f16_e32 v14, v4, v5
	v_sub_f16_e32 v13, v4, v5
	ds_load_2addr_b32 v[4:5], v161 offset0:32 offset1:228
	s_wait_dscnt 0x0
	v_lshrrev_b32_e32 v6, 16, v4
	v_add_f16_e32 v20, v4, v10
	v_sub_f16_e32 v4, v4, v10
	s_delay_alu instid0(VALU_DEP_3)
	v_add_f16_e32 v16, v6, v7
	v_sub_f16_e32 v15, v6, v7
	ds_load_2addr_b32 v[6:7], v160 offset0:48 offset1:244
	s_wait_dscnt 0x0
	v_lshrrev_b32_e32 v17, 16, v6
	v_add_f16_e32 v21, v6, v8
	v_sub_f16_e32 v6, v8, v6
	s_delay_alu instid0(VALU_DEP_3)
	v_add_f16_e32 v18, v17, v19
	v_sub_f16_e32 v17, v19, v17
	v_add_f16_e32 v19, v0, v2
	v_sub_f16_e32 v0, v0, v2
	;; [unrolled: 2-line block ×3, first 2 shown]
	v_sub_f16_e32 v10, v14, v18
	v_add_f16_e32 v22, v20, v19
	v_sub_f16_e32 v6, v0, v6
	v_sub_f16_e32 v4, v4, v0
	v_add_f16_e32 v0, v2, v0
	v_add_f16_e32 v2, v16, v14
	v_sub_f16_e32 v23, v19, v21
	v_sub_f16_e32 v19, v20, v19
	;; [unrolled: 1-line block ×5, first 2 shown]
	v_add_f16_e32 v2, v18, v2
	v_add_f16_e32 v18, v17, v15
	;; [unrolled: 1-line block ×3, first 2 shown]
	v_sub_f16_e32 v22, v17, v15
	v_sub_f16_e32 v17, v13, v17
	;; [unrolled: 1-line block ×3, first 2 shown]
	v_add_f16_e32 v18, v18, v13
	v_mul_f16_e32 v13, 0x3a52, v23
	v_mul_f16_e32 v23, 0x2b26, v20
	;; [unrolled: 1-line block ×5, first 2 shown]
	v_fmamk_f16 v20, v20, 0x2b26, v13
	v_fma_f16 v23, v19, 0x39e0, -v23
	v_fma_f16 v19, v19, 0xb9e0, -v13
	;; [unrolled: 1-line block ×3, first 2 shown]
	v_fmamk_f16 v8, v6, 0x3574, v8
	v_fmac_f16_e32 v30, 0xb574, v6
	v_mul_f16_e32 v6, 0x3a52, v10
	v_mul_f16_e32 v10, 0x2b26, v16
	;; [unrolled: 1-line block ×3, first 2 shown]
	v_fmac_f16_e32 v8, 0x370e, v0
	v_fmac_f16_e32 v4, 0x370e, v0
	v_fmamk_f16 v16, v16, 0x2b26, v6
	v_fma_f16 v10, v14, 0x39e0, -v10
	v_fma_f16 v6, v14, 0xb9e0, -v6
	;; [unrolled: 1-line block ×3, first 2 shown]
	v_fmamk_f16 v33, v17, 0x3574, v13
	ds_load_2addr_b32 v[13:14], v154 offset1:196
	v_fmac_f16_e32 v30, 0x370e, v0
	v_fmac_f16_e32 v31, 0xb574, v17
	;; [unrolled: 1-line block ×4, first 2 shown]
	s_delay_alu instid0(VALU_DEP_3) | instskip(SKIP_3) | instid1(VALU_DEP_2)
	v_fmac_f16_e32 v31, 0x370e, v18
	s_wait_dscnt 0x0
	v_lshrrev_b32_e32 v0, 16, v13
	v_add_f16_e32 v13, v13, v21
	v_add_f16_e32 v0, v0, v2
	s_delay_alu instid0(VALU_DEP_2) | instskip(NEXT) | instid1(VALU_DEP_2)
	v_fmamk_f16 v15, v21, 0xbcab, v13
	v_fmamk_f16 v2, v2, 0xbcab, v0
	v_pack_b32_f16 v0, v13, v0
	s_delay_alu instid0(VALU_DEP_3)
	v_add_f16_e32 v13, v20, v15
	v_add_f16_e32 v23, v23, v15
	;; [unrolled: 1-line block ×7, first 2 shown]
	s_delay_alu instid0(VALU_DEP_4) | instskip(NEXT) | instid1(VALU_DEP_4)
	v_sub_f16_e32 v15, v35, v8
	v_add_f16_e32 v16, v4, v10
	v_sub_f16_e32 v4, v10, v4
	v_add_f16_e32 v10, v1, v3
	s_delay_alu instid0(VALU_DEP_4) | instskip(SKIP_1) | instid1(VALU_DEP_1)
	v_pack_b32_f16 v6, v6, v15
	v_sub_f16_e32 v15, v23, v32
	v_pack_b32_f16 v36, v15, v16
	v_add_f16_e32 v15, v31, v34
	v_sub_f16_e32 v16, v2, v30
	v_add_f16_e32 v2, v30, v2
	s_delay_alu instid0(VALU_DEP_2) | instskip(SKIP_1) | instid1(VALU_DEP_1)
	v_pack_b32_f16 v37, v15, v16
	v_mul_lo_u16 v15, v12, 7
	v_and_b32_e32 v15, 0xffff, v15
	s_delay_alu instid0(VALU_DEP_1)
	v_lshlrev_b32_e32 v170, 2, v15
	ds_load_2addr_b32 v[15:16], v124 offset0:8 offset1:204
	ds_load_2addr_b32 v[17:18], v128 offset0:24 offset1:220
	;; [unrolled: 1-line block ×7, first 2 shown]
	global_wb scope:SCOPE_SE
	s_wait_dscnt 0x0
	s_barrier_signal -1
	s_barrier_wait -1
	global_inv scope:SCOPE_SE
	ds_store_2addr_b32 v170, v0, v6 offset1:1
	v_add_f16_e32 v0, v32, v23
	v_sub_f16_e32 v6, v34, v31
	s_delay_alu instid0(VALU_DEP_2) | instskip(NEXT) | instid1(VALU_DEP_2)
	v_pack_b32_f16 v0, v0, v4
	v_pack_b32_f16 v2, v6, v2
	ds_store_2addr_b32 v170, v37, v36 offset0:2 offset1:3
	v_sub_f16_e32 v4, v13, v33
	v_add_f16_e32 v6, v8, v35
	v_lshrrev_b32_e32 v8, 16, v1
	v_sub_f16_e32 v1, v1, v3
	v_lshrrev_b32_e32 v3, 16, v3
	v_add_f16_e32 v13, v7, v9
	v_pack_b32_f16 v4, v4, v6
	ds_store_2addr_b32 v170, v0, v2 offset0:4 offset1:5
	v_lshrrev_b32_e32 v0, 16, v5
	v_add_f16_e32 v2, v5, v11
	v_sub_f16_e32 v5, v5, v11
	ds_store_b32 v170, v4 offset:24
	v_lshrrev_b32_e32 v6, 16, v11
	v_lshrrev_b32_e32 v11, 16, v7
	v_sub_f16_e32 v7, v9, v7
	v_lshrrev_b32_e32 v9, 16, v9
	v_add_f16_e32 v23, v8, v3
	v_sub_f16_e32 v3, v8, v3
	v_add_f16_e32 v8, v0, v6
	v_sub_f16_e32 v0, v0, v6
	;; [unrolled: 2-line block ×4, first 2 shown]
	v_sub_f16_e32 v10, v2, v10
	v_sub_f16_e32 v2, v13, v2
	v_add_f16_e32 v32, v8, v23
	v_add_f16_e32 v11, v13, v11
	;; [unrolled: 1-line block ×3, first 2 shown]
	v_sub_f16_e32 v31, v7, v5
	v_sub_f16_e32 v7, v1, v7
	;; [unrolled: 1-line block ×4, first 2 shown]
	v_add_f16_e32 v1, v13, v1
	v_lshrrev_b32_e32 v13, 16, v14
	v_sub_f16_e32 v23, v8, v23
	v_sub_f16_e32 v8, v6, v8
	v_add_f16_e32 v6, v6, v32
	v_add_f16_e32 v32, v9, v0
	;; [unrolled: 1-line block ×3, first 2 shown]
	v_sub_f16_e32 v34, v9, v0
	v_sub_f16_e32 v9, v3, v9
	;; [unrolled: 1-line block ×3, first 2 shown]
	v_add_f16_e32 v3, v32, v3
	v_mul_f16_e32 v30, 0x3a52, v30
	v_mul_f16_e32 v32, 0x2b26, v2
	v_add_f16_e32 v13, v13, v6
	v_fmamk_f16 v11, v11, 0xbcab, v14
	s_delay_alu instid0(VALU_DEP_4) | instskip(NEXT) | instid1(VALU_DEP_4)
	v_fmamk_f16 v2, v2, 0x2b26, v30
	v_fma_f16 v32, v10, 0x39e0, -v32
	v_fma_f16 v10, v10, 0xb9e0, -v30
	v_mul_f16_e32 v30, 0x3a52, v33
	v_mul_f16_e32 v33, 0x2b26, v8
	v_fmamk_f16 v6, v6, 0xbcab, v13
	v_pack_b32_f16 v13, v14, v13
	v_mul_f16_e32 v14, 0xb846, v31
	v_fmamk_f16 v8, v8, 0x2b26, v30
	v_fma_f16 v33, v23, 0x39e0, -v33
	v_fma_f16 v23, v23, 0xb9e0, -v30
	v_mul_f16_e32 v30, 0xb846, v34
	v_fmamk_f16 v31, v7, 0x3574, v14
	v_fma_f16 v4, v5, 0x3b00, -v14
	v_mul_f16_e32 v14, 0xbb00, v5
	v_add_f16_e32 v2, v2, v11
	v_fmamk_f16 v34, v9, 0x3574, v30
	v_add_f16_e32 v10, v10, v11
	v_fmac_f16_e32 v4, 0x370e, v1
	v_fmac_f16_e32 v14, 0xb574, v7
	v_fma_f16 v7, v0, 0x3b00, -v30
	v_mul_f16_e32 v0, 0xbb00, v0
	v_fmac_f16_e32 v31, 0x370e, v1
	v_fmac_f16_e32 v34, 0x370e, v3
	v_add_f16_e32 v8, v8, v6
	v_fmac_f16_e32 v7, 0x370e, v3
	v_fmac_f16_e32 v0, 0xb574, v9
	v_add_f16_e32 v9, v32, v11
	v_add_f16_e32 v11, v33, v6
	;; [unrolled: 1-line block ×3, first 2 shown]
	v_fmac_f16_e32 v14, 0x370e, v1
	v_fmac_f16_e32 v0, 0x370e, v3
	v_sub_f16_e32 v1, v9, v7
	v_add_f16_e32 v3, v4, v11
	v_add_f16_e32 v35, v2, v34
	v_sub_f16_e32 v5, v6, v14
	v_sub_f16_e32 v36, v8, v31
	v_add_f16_e32 v7, v7, v9
	v_pack_b32_f16 v1, v1, v3
	v_add_f16_e32 v3, v0, v10
	v_sub_f16_e32 v0, v10, v0
	v_pack_b32_f16 v35, v35, v36
	v_add_f16_e32 v6, v14, v6
	v_sub_f16_e32 v4, v11, v4
	v_pack_b32_f16 v3, v3, v5
	v_add_co_u32 v5, null, 0xc4, v156
	s_delay_alu instid0(VALU_DEP_4) | instskip(NEXT) | instid1(VALU_DEP_4)
	v_pack_b32_f16 v0, v0, v6
	v_pack_b32_f16 v4, v7, v4
	v_lshrrev_b32_e32 v7, 16, v24
	s_delay_alu instid0(VALU_DEP_4) | instskip(SKIP_2) | instid1(VALU_DEP_3)
	v_mul_u32_u24_e32 v23, 7, v5
	v_add_f16_e32 v9, v21, v24
	v_lshrrev_b32_e32 v30, 16, v15
	v_lshlrev_b32_e32 v172, 2, v23
	ds_store_2addr_b32 v172, v13, v35 offset1:1
	ds_store_2addr_b32 v172, v3, v1 offset0:2 offset1:3
	v_sub_f16_e32 v1, v2, v34
	v_add_f16_e32 v2, v31, v8
	s_delay_alu instid0(VALU_DEP_1)
	v_pack_b32_f16 v1, v1, v2
	ds_store_2addr_b32 v172, v4, v0 offset0:4 offset1:5
	v_lshrrev_b32_e32 v0, 16, v17
	v_lshrrev_b32_e32 v2, 16, v28
	;; [unrolled: 1-line block ×3, first 2 shown]
	ds_store_b32 v172, v1 offset:24
	v_add_f16_e32 v1, v17, v28
	v_sub_f16_e32 v17, v17, v28
	v_add_f16_e32 v3, v0, v2
	v_sub_f16_e32 v0, v0, v2
	v_lshrrev_b32_e32 v2, 16, v19
	v_sub_f16_e32 v11, v1, v9
	s_delay_alu instid0(VALU_DEP_2)
	v_add_f16_e32 v6, v2, v4
	v_sub_f16_e32 v2, v2, v4
	v_lshrrev_b32_e32 v4, 16, v21
	v_sub_f16_e32 v21, v24, v21
	v_mul_f16_e32 v11, 0x3a52, v11
	v_add_f16_e32 v13, v6, v3
	s_delay_alu instid0(VALU_DEP_4) | instskip(SKIP_3) | instid1(VALU_DEP_4)
	v_add_f16_e32 v8, v4, v7
	v_sub_f16_e32 v4, v7, v4
	v_add_f16_e32 v7, v19, v26
	v_sub_f16_e32 v19, v19, v26
	;; [unrolled: 2-line block ×3, first 2 shown]
	s_delay_alu instid0(VALU_DEP_4)
	v_add_f16_e32 v10, v7, v1
	v_sub_f16_e32 v8, v8, v6
	v_sub_f16_e32 v24, v21, v19
	v_add_f16_e32 v26, v4, v2
	v_sub_f16_e32 v28, v4, v2
	v_add_f16_e32 v10, v9, v10
	;; [unrolled: 2-line block ×4, first 2 shown]
	v_add_f16_e32 v30, v30, v13
	v_mul_f16_e32 v14, 0x3a52, v14
	v_mul_f16_e32 v24, 0xb846, v24
	v_mul_f16_e32 v28, 0xb846, v28
	v_add_f16_e32 v15, v15, v10
	v_sub_f16_e32 v1, v7, v1
	v_sub_f16_e32 v3, v6, v3
	;; [unrolled: 1-line block ×4, first 2 shown]
	v_mul_f16_e32 v2, 0x2b26, v9
	v_mul_f16_e32 v7, 0x2b26, v8
	v_sub_f16_e32 v21, v17, v21
	v_add_f16_e32 v23, v23, v17
	v_fmamk_f16 v10, v10, 0xbcab, v15
	v_fmamk_f16 v13, v13, 0xbcab, v30
	;; [unrolled: 1-line block ×4, first 2 shown]
	v_fma_f16 v2, v1, 0x39e0, -v2
	v_fma_f16 v7, v3, 0x39e0, -v7
	;; [unrolled: 1-line block ×3, first 2 shown]
	v_mul_f16_e32 v6, 0xbb00, v6
	v_fma_f16 v9, v0, 0x3b00, -v28
	v_mul_f16_e32 v0, 0xbb00, v0
	v_fmamk_f16 v33, v4, 0x3574, v28
	v_fma_f16 v1, v1, 0xb9e0, -v11
	v_fma_f16 v3, v3, 0xb9e0, -v14
	v_fmac_f16_e32 v6, 0xb574, v21
	v_fmac_f16_e32 v0, 0xb574, v4
	v_add_f16_e32 v2, v2, v10
	v_add_f16_e32 v4, v7, v13
	v_fmac_f16_e32 v9, 0x370e, v26
	v_fmac_f16_e32 v8, 0x370e, v23
	v_add_f16_e32 v31, v31, v10
	v_fmamk_f16 v34, v21, 0x3574, v24
	v_add_f16_e32 v1, v1, v10
	v_add_f16_e32 v3, v3, v13
	v_fmac_f16_e32 v0, 0x370e, v26
	v_fmac_f16_e32 v6, 0x370e, v23
	v_sub_f16_e32 v7, v2, v9
	v_add_f16_e32 v10, v8, v4
	v_add_f16_e32 v32, v32, v13
	v_fmac_f16_e32 v33, 0x370e, v26
	v_fmac_f16_e32 v34, 0x370e, v23
	v_sub_f16_e32 v11, v3, v6
	v_pack_b32_f16 v7, v7, v10
	v_add_f16_e32 v10, v0, v1
	v_add_co_u32 v24, null, 0x188, v156
	v_add_f16_e32 v35, v31, v33
	v_sub_f16_e32 v36, v32, v34
	s_delay_alu instid0(VALU_DEP_4) | instskip(NEXT) | instid1(VALU_DEP_4)
	v_pack_b32_f16 v10, v10, v11
	v_mul_u32_u24_e32 v11, 7, v24
	v_add_f16_e32 v2, v9, v2
	v_sub_f16_e32 v0, v1, v0
	v_add_f16_e32 v1, v6, v3
	v_sub_f16_e32 v3, v4, v8
	v_pack_b32_f16 v35, v35, v36
	v_pack_b32_f16 v15, v15, v30
	v_lshlrev_b32_e32 v171, 2, v11
	v_pack_b32_f16 v0, v0, v1
	v_pack_b32_f16 v1, v2, v3
	v_sub_f16_e32 v2, v31, v33
	v_add_f16_e32 v3, v34, v32
	ds_store_2addr_b32 v171, v15, v35 offset1:1
	ds_store_2addr_b32 v171, v10, v7 offset0:2 offset1:3
	v_lshrrev_b32_e32 v4, 16, v29
	v_lshrrev_b32_e32 v6, 16, v20
	v_pack_b32_f16 v2, v2, v3
	ds_store_2addr_b32 v171, v1, v0 offset0:4 offset1:5
	v_lshrrev_b32_e32 v0, 16, v18
	v_add_f16_e32 v1, v18, v29
	v_add_f16_e32 v7, v20, v27
	ds_store_b32 v171, v2 offset:24
	v_lshrrev_b32_e32 v9, 16, v27
	v_lshrrev_b32_e32 v10, 16, v22
	;; [unrolled: 1-line block ×3, first 2 shown]
	v_add_f16_e32 v11, v22, v25
	v_add_f16_e32 v15, v0, v4
	v_sub_f16_e32 v0, v0, v4
	v_add_f16_e32 v4, v6, v9
	v_sub_f16_e32 v6, v6, v9
	;; [unrolled: 2-line block ×4, first 2 shown]
	v_sub_f16_e32 v8, v20, v27
	v_sub_f16_e32 v13, v25, v22
	;; [unrolled: 1-line block ×3, first 2 shown]
	v_add_f16_e32 v14, v11, v14
	v_sub_f16_e32 v11, v11, v7
	v_add_f16_e32 v18, v4, v15
	v_add_f16_e32 v22, v10, v6
	v_lshrrev_b32_e32 v17, 16, v16
	v_add_f16_e32 v16, v16, v14
	v_sub_f16_e32 v19, v15, v9
	v_add_f16_e32 v18, v9, v18
	v_sub_f16_e32 v9, v9, v4
	;; [unrolled: 2-line block ×3, first 2 shown]
	v_sub_f16_e32 v23, v10, v6
	v_sub_f16_e32 v10, v0, v10
	v_add_f16_e32 v22, v22, v0
	v_mul_f16_e32 v2, 0x3a52, v2
	v_sub_f16_e32 v1, v7, v1
	v_sub_f16_e32 v0, v6, v0
	v_mul_f16_e32 v6, 0x2b26, v11
	v_sub_f16_e32 v13, v3, v13
	v_add_f16_e32 v20, v20, v3
	v_add_f16_e32 v17, v17, v18
	v_mul_f16_e32 v19, 0x3a52, v19
	v_mul_f16_e32 v21, 0xb846, v21
	;; [unrolled: 1-line block ×3, first 2 shown]
	v_fmamk_f16 v14, v14, 0xbcab, v16
	v_fmamk_f16 v25, v11, 0x2b26, v2
	v_sub_f16_e32 v4, v4, v15
	v_sub_f16_e32 v3, v8, v3
	v_fma_f16 v6, v1, 0x39e0, -v6
	v_fma_f16 v1, v1, 0xb9e0, -v2
	v_mul_f16_e32 v2, 0x2b26, v9
	v_fmamk_f16 v18, v18, 0xbcab, v17
	v_add_f16_e32 v26, v25, v14
	v_fmamk_f16 v25, v9, 0x2b26, v19
	v_fmamk_f16 v28, v10, 0x3574, v23
	;; [unrolled: 1-line block ×3, first 2 shown]
	v_fma_f16 v2, v4, 0x39e0, -v2
	v_fma_f16 v7, v3, 0x3b00, -v21
	v_mul_f16_e32 v3, 0xbb00, v3
	v_fma_f16 v8, v0, 0x3b00, -v23
	v_mul_f16_e32 v0, 0xbb00, v0
	v_add_f16_e32 v27, v25, v18
	v_fmac_f16_e32 v28, 0x370e, v22
	v_fmac_f16_e32 v29, 0x370e, v20
	v_fma_f16 v4, v4, 0xb9e0, -v19
	v_fmac_f16_e32 v3, 0xb574, v13
	v_fmac_f16_e32 v0, 0xb574, v10
	v_add_f16_e32 v6, v6, v14
	v_add_f16_e32 v2, v2, v18
	v_fmac_f16_e32 v8, 0x370e, v22
	v_fmac_f16_e32 v7, 0x370e, v20
	v_add_f16_e32 v25, v26, v28
	v_sub_f16_e32 v30, v27, v29
	v_add_f16_e32 v1, v1, v14
	v_add_f16_e32 v4, v4, v18
	v_fmac_f16_e32 v0, 0x370e, v22
	v_fmac_f16_e32 v3, 0x370e, v20
	v_sub_f16_e32 v9, v6, v8
	v_add_f16_e32 v10, v7, v2
	v_pack_b32_f16 v30, v25, v30
	v_add_co_u32 v25, null, 0x24c, v156
	v_sub_f16_e32 v11, v4, v3
	s_delay_alu instid0(VALU_DEP_4)
	v_pack_b32_f16 v9, v9, v10
	v_add_f16_e32 v10, v0, v1
	v_add_f16_e32 v6, v8, v6
	v_sub_f16_e32 v0, v1, v0
	v_add_f16_e32 v1, v3, v4
	v_sub_f16_e32 v2, v2, v7
	v_pack_b32_f16 v10, v10, v11
	v_mul_u32_u24_e32 v11, 7, v25
	v_pack_b32_f16 v16, v16, v17
	v_pack_b32_f16 v0, v0, v1
	;; [unrolled: 1-line block ×3, first 2 shown]
	v_sub_f16_e32 v2, v26, v28
	v_lshlrev_b32_e32 v169, 2, v11
	v_add_f16_e32 v3, v29, v27
	v_and_b32_e32 v6, 0xff, v12
	v_add_nc_u16 v26, v12, 0x310
	v_add_nc_u16 v27, v12, 0x3d4
	ds_store_2addr_b32 v169, v16, v30 offset1:1
	ds_store_2addr_b32 v169, v10, v9 offset0:2 offset1:3
	v_pack_b32_f16 v2, v2, v3
	ds_store_2addr_b32 v169, v1, v0 offset0:4 offset1:5
	v_mul_lo_u16 v0, v6, 37
	v_add_nc_u16 v28, v12, 0x498
	ds_store_b32 v169, v2 offset:24
	global_wb scope:SCOPE_SE
	s_wait_dscnt 0x0
	v_lshrrev_b16 v0, 8, v0
	s_barrier_signal -1
	s_barrier_wait -1
	global_inv scope:SCOPE_SE
	v_sub_nc_u16 v1, v12, v0
	s_delay_alu instid0(VALU_DEP_1) | instskip(NEXT) | instid1(VALU_DEP_1)
	v_lshrrev_b16 v1, 1, v1
	v_and_b32_e32 v1, 0x7f, v1
	s_delay_alu instid0(VALU_DEP_1) | instskip(SKIP_1) | instid1(VALU_DEP_2)
	v_add_nc_u16 v0, v1, v0
	v_and_b32_e32 v1, 0xffff, v5
	v_lshrrev_b16 v0, 2, v0
	s_delay_alu instid0(VALU_DEP_2) | instskip(NEXT) | instid1(VALU_DEP_1)
	v_mul_u32_u24_e32 v1, 0x2493, v1
	v_lshrrev_b32_e32 v1, 16, v1
	s_delay_alu instid0(VALU_DEP_1) | instskip(NEXT) | instid1(VALU_DEP_1)
	v_sub_nc_u16 v2, v5, v1
	v_lshrrev_b16 v2, 1, v2
	s_delay_alu instid0(VALU_DEP_1) | instskip(SKIP_1) | instid1(VALU_DEP_2)
	v_add_nc_u16 v1, v2, v1
	v_and_b32_e32 v2, 0xffff, v24
	v_lshrrev_b16 v31, 2, v1
	s_delay_alu instid0(VALU_DEP_2) | instskip(SKIP_2) | instid1(VALU_DEP_3)
	v_mul_u32_u24_e32 v2, 0x2493, v2
	v_mul_lo_u16 v1, v0, 7
	v_and_b32_e32 v0, 0xffff, v0
	v_lshrrev_b32_e32 v2, 16, v2
	s_delay_alu instid0(VALU_DEP_3) | instskip(NEXT) | instid1(VALU_DEP_3)
	v_sub_nc_u16 v1, v12, v1
	v_mul_u32_u24_e32 v0, 28, v0
	s_delay_alu instid0(VALU_DEP_3) | instskip(NEXT) | instid1(VALU_DEP_1)
	v_sub_nc_u16 v3, v24, v2
	v_lshrrev_b16 v3, 1, v3
	s_delay_alu instid0(VALU_DEP_1) | instskip(SKIP_1) | instid1(VALU_DEP_2)
	v_add_nc_u16 v4, v3, v2
	v_and_b32_e32 v2, 0xffff, v25
	v_lshrrev_b16 v49, 2, v4
	s_delay_alu instid0(VALU_DEP_2) | instskip(NEXT) | instid1(VALU_DEP_1)
	v_mul_u32_u24_e32 v2, 0x2493, v2
	v_lshrrev_b32_e32 v2, 16, v2
	s_delay_alu instid0(VALU_DEP_1) | instskip(NEXT) | instid1(VALU_DEP_1)
	v_sub_nc_u16 v3, v25, v2
	v_lshrrev_b16 v3, 1, v3
	s_delay_alu instid0(VALU_DEP_1) | instskip(SKIP_1) | instid1(VALU_DEP_2)
	v_add_nc_u16 v11, v3, v2
	v_and_b32_e32 v2, 0xffff, v26
	v_lshrrev_b16 v11, 2, v11
	s_delay_alu instid0(VALU_DEP_2) | instskip(NEXT) | instid1(VALU_DEP_1)
	v_mul_u32_u24_e32 v2, 0x2493, v2
	v_lshrrev_b32_e32 v2, 16, v2
	s_delay_alu instid0(VALU_DEP_1) | instskip(NEXT) | instid1(VALU_DEP_1)
	;; [unrolled: 10-line block ×4, first 2 shown]
	v_sub_nc_u16 v3, v28, v2
	v_lshrrev_b16 v3, 1, v3
	s_delay_alu instid0(VALU_DEP_1) | instskip(SKIP_1) | instid1(VALU_DEP_1)
	v_add_nc_u16 v17, v3, v2
	v_mul_lo_u16 v2, v31, 7
	v_sub_nc_u16 v44, v5, v2
	v_and_b32_e32 v2, 0xff, v1
	s_delay_alu instid0(VALU_DEP_2) | instskip(NEXT) | instid1(VALU_DEP_2)
	v_mul_lo_u16 v1, v44, 12
	v_add_lshl_u32 v65, v0, v2, 2
	v_mad_co_u64_u32 v[2:3], null, v2, 12, s[6:7]
	v_mad_u16 v31, v31, 28, v44
	s_delay_alu instid0(VALU_DEP_4) | instskip(NEXT) | instid1(VALU_DEP_1)
	v_and_b32_e32 v1, 0xffff, v1
	v_add_co_u32 v0, s2, s6, v1
	s_wait_alu 0xf1ff
	v_add_co_ci_u32_e64 v1, null, s7, 0, s2
	s_clause 0x1
	global_load_b96 v[32:34], v[2:3], off
	global_load_b96 v[41:43], v[0:1], off
	ds_load_2addr_b32 v[0:1], v128 offset0:24 offset1:220
	s_wait_dscnt 0x0
	v_lshrrev_b32_e32 v2, 16, v1
	s_wait_loadcnt 0x1
	v_lshrrev_b32_e32 v3, 16, v32
	v_lshrrev_b32_e32 v8, 16, v34
	;; [unrolled: 1-line block ×3, first 2 shown]
	s_wait_loadcnt 0x0
	v_lshrrev_b32_e32 v148, 16, v41
	v_mul_f16_e32 v14, v1, v3
	v_mul_f16_e32 v9, v2, v3
	s_delay_alu instid0(VALU_DEP_2)
	v_fmac_f16_e32 v14, v2, v32
	ds_load_2addr_b32 v[2:3], v155 offset0:16 offset1:212
	v_fma_f16 v1, v1, v32, -v9
	s_wait_dscnt 0x0
	v_lshrrev_b32_e32 v7, 16, v3
	v_mul_f16_e32 v10, v3, v8
	s_delay_alu instid0(VALU_DEP_2) | instskip(NEXT) | instid1(VALU_DEP_2)
	v_mul_f16_e32 v16, v7, v8
	v_fmac_f16_e32 v10, v7, v34
	ds_load_2addr_b32 v[7:8], v138 offset0:56 offset1:252
	v_fma_f16 v3, v3, v34, -v16
	v_sub_f16_e32 v16, v14, v10
	ds_load_2addr_b32 v[9:10], v154 offset1:196
	v_sub_f16_e32 v3, v1, v3
	v_fma_f16 v14, v14, 2.0, -v16
	s_delay_alu instid0(VALU_DEP_2) | instskip(SKIP_3) | instid1(VALU_DEP_1)
	v_fma_f16 v1, v1, 2.0, -v3
	s_wait_dscnt 0x1
	v_lshrrev_b32_e32 v18, 16, v7
	v_mul_f16_e32 v19, v7, v20
	v_fmac_f16_e32 v19, v18, v33
	v_mul_f16_e32 v18, v18, v20
	s_delay_alu instid0(VALU_DEP_1) | instskip(SKIP_2) | instid1(VALU_DEP_2)
	v_fma_f16 v7, v7, v33, -v18
	s_wait_dscnt 0x0
	v_lshrrev_b32_e32 v18, 16, v9
	v_sub_f16_e32 v7, v9, v7
	s_delay_alu instid0(VALU_DEP_2) | instskip(NEXT) | instid1(VALU_DEP_2)
	v_sub_f16_e32 v19, v18, v19
	v_sub_f16_e32 v45, v7, v16
	s_delay_alu instid0(VALU_DEP_2) | instskip(SKIP_1) | instid1(VALU_DEP_3)
	v_add_f16_e32 v23, v19, v3
	v_fma_f16 v3, v18, 2.0, -v19
	v_fma_f16 v18, v7, 2.0, -v45
	;; [unrolled: 1-line block ×3, first 2 shown]
	s_delay_alu instid0(VALU_DEP_3) | instskip(SKIP_2) | instid1(VALU_DEP_4)
	v_sub_f16_e32 v47, v3, v14
	v_fma_f16 v16, v19, 2.0, -v23
	v_pack_b32_f16 v23, v45, v23
	v_sub_f16_e32 v9, v7, v1
	s_delay_alu instid0(VALU_DEP_4) | instskip(NEXT) | instid1(VALU_DEP_4)
	v_fma_f16 v3, v3, 2.0, -v47
	v_pack_b32_f16 v46, v18, v16
	s_delay_alu instid0(VALU_DEP_3) | instskip(SKIP_1) | instid1(VALU_DEP_2)
	v_fma_f16 v1, v7, 2.0, -v9
	v_pack_b32_f16 v9, v9, v47
	v_pack_b32_f16 v48, v1, v3
	v_mul_lo_u16 v1, v49, 7
	s_delay_alu instid0(VALU_DEP_1) | instskip(NEXT) | instid1(VALU_DEP_1)
	v_sub_nc_u16 v59, v24, v1
	v_mul_lo_u16 v1, v59, 12
	s_delay_alu instid0(VALU_DEP_1) | instskip(NEXT) | instid1(VALU_DEP_1)
	v_and_b32_e32 v1, 0xffff, v1
	v_add_co_u32 v3, s2, s6, v1
	v_mul_lo_u16 v1, v11, 7
	s_wait_alu 0xf1ff
	v_add_co_ci_u32_e64 v4, null, s7, 0, s2
	s_delay_alu instid0(VALU_DEP_2) | instskip(SKIP_1) | instid1(VALU_DEP_2)
	v_sub_nc_u16 v61, v25, v1
	v_mul_lo_u16 v1, v60, 7
	v_mad_u16 v11, v11, 28, v61
	s_delay_alu instid0(VALU_DEP_2) | instskip(SKIP_1) | instid1(VALU_DEP_2)
	v_sub_nc_u16 v62, v26, v1
	v_mul_lo_u16 v1, v61, 12
	v_mul_lo_u16 v7, v62, 12
	s_delay_alu instid0(VALU_DEP_2) | instskip(NEXT) | instid1(VALU_DEP_2)
	v_and_b32_e32 v1, 0xffff, v1
	v_and_b32_e32 v7, 0xffff, v7
	s_delay_alu instid0(VALU_DEP_2) | instskip(SKIP_2) | instid1(VALU_DEP_3)
	v_add_co_u32 v13, s2, s6, v1
	s_wait_alu 0xf1ff
	v_add_co_ci_u32_e64 v14, null, s7, 0, s2
	v_add_co_u32 v15, s2, s6, v7
	v_lshrrev_b16 v1, 2, v17
	v_mul_lo_u16 v7, v63, 7
	s_wait_alu 0xf1ff
	v_add_co_ci_u32_e64 v16, null, s7, 0, s2
	s_delay_alu instid0(VALU_DEP_2) | instskip(SKIP_1) | instid1(VALU_DEP_2)
	v_sub_nc_u16 v64, v27, v7
	v_mul_lo_u16 v7, v1, 7
	v_mul_lo_u16 v17, v64, 12
	s_delay_alu instid0(VALU_DEP_2) | instskip(NEXT) | instid1(VALU_DEP_2)
	v_sub_nc_u16 v7, v28, v7
	v_and_b32_e32 v17, 0xffff, v17
	s_delay_alu instid0(VALU_DEP_2) | instskip(SKIP_1) | instid1(VALU_DEP_3)
	v_mul_lo_u16 v18, v7, 12
	v_mad_u16 v1, v1, 28, v7
	v_add_co_u32 v17, s2, s6, v17
	s_delay_alu instid0(VALU_DEP_3) | instskip(SKIP_3) | instid1(VALU_DEP_3)
	v_and_b32_e32 v19, 0xffff, v18
	s_wait_alu 0xf1ff
	v_add_co_ci_u32_e64 v18, null, s7, 0, s2
	v_and_b32_e32 v1, 0xffff, v1
	v_add_co_u32 v19, s2, s6, v19
	s_wait_alu 0xf1ff
	v_add_co_ci_u32_e64 v20, null, s7, 0, s2
	s_clause 0x4
	global_load_b96 v[50:52], v[3:4], off
	global_load_b96 v[176:178], v[13:14], off
	;; [unrolled: 1-line block ×5, first 2 shown]
	ds_load_2addr_b32 v[13:14], v161 offset0:32 offset1:228
	ds_load_2addr_b32 v[15:16], v194 offset0:24 offset1:220
	;; [unrolled: 1-line block ×3, first 2 shown]
	ds_load_2addr_b32 v[19:20], v158 offset1:196
	ds_load_2addr_b32 v[21:22], v127 offset0:40 offset1:236
	ds_load_2addr_b32 v[29:30], v150 offset0:32 offset1:228
	;; [unrolled: 1-line block ×6, first 2 shown]
	global_wb scope:SCOPE_SE
	s_wait_loadcnt_dscnt 0x0
	s_barrier_signal -1
	s_barrier_wait -1
	global_inv scope:SCOPE_SE
	ds_store_2addr_b32 v65, v9, v23 offset0:14 offset1:21
	v_lshrrev_b32_e32 v9, 16, v8
	v_lshrrev_b32_e32 v23, 16, v42
	ds_store_2addr_b32 v65, v48, v46 offset1:7
	v_lshlrev_b32_e32 v111, 2, v1
	v_lshrrev_b32_e32 v44, 16, v13
	v_mul_f16_e32 v45, v9, v23
	v_mul_f16_e64 v46, v13, v148
	v_lshrrev_b32_e32 v47, 16, v15
	s_delay_alu instid0(VALU_DEP_3) | instskip(SKIP_4) | instid1(VALU_DEP_4)
	v_fma_f16 v45, v8, v42, -v45
	v_mul_f16_e32 v8, v8, v23
	v_lshrrev_b32_e32 v23, 16, v43
	v_fmac_f16_e32 v46, v44, v41
	v_mul_f16_e64 v44, v44, v148
	v_fmac_f16_e32 v8, v9, v42
	s_delay_alu instid0(VALU_DEP_4) | instskip(SKIP_3) | instid1(VALU_DEP_4)
	v_mul_f16_e32 v48, v15, v23
	v_sub_f16_e32 v9, v10, v45
	v_lshrrev_b32_e32 v45, 16, v10
	v_fma_f16 v13, v13, v41, -v44
	v_fmac_f16_e32 v48, v47, v43
	v_mul_f16_e32 v47, v47, v23
	s_delay_alu instid0(VALU_DEP_4) | instskip(SKIP_1) | instid1(VALU_DEP_4)
	v_sub_f16_e32 v8, v45, v8
	v_fma_f16 v10, v10, 2.0, -v9
	v_sub_f16_e32 v44, v46, v48
	s_delay_alu instid0(VALU_DEP_4) | instskip(NEXT) | instid1(VALU_DEP_4)
	v_fma_f16 v15, v15, v43, -v47
	v_fma_f16 v45, v45, 2.0, -v8
	s_delay_alu instid0(VALU_DEP_3) | instskip(NEXT) | instid1(VALU_DEP_3)
	v_fma_f16 v46, v46, 2.0, -v44
	v_sub_f16_e32 v15, v13, v15
	v_sub_f16_e32 v44, v9, v44
	s_delay_alu instid0(VALU_DEP_3) | instskip(NEXT) | instid1(VALU_DEP_3)
	v_sub_f16_e32 v46, v45, v46
	v_fma_f16 v13, v13, 2.0, -v15
	v_add_f16_e32 v15, v8, v15
	s_delay_alu instid0(VALU_DEP_4) | instskip(NEXT) | instid1(VALU_DEP_4)
	v_fma_f16 v9, v9, 2.0, -v44
	v_fma_f16 v45, v45, 2.0, -v46
	s_delay_alu instid0(VALU_DEP_4) | instskip(NEXT) | instid1(VALU_DEP_4)
	v_sub_f16_e32 v13, v10, v13
	v_fma_f16 v8, v8, 2.0, -v15
	s_delay_alu instid0(VALU_DEP_2) | instskip(NEXT) | instid1(VALU_DEP_2)
	v_fma_f16 v10, v10, 2.0, -v13
	v_pack_b32_f16 v8, v9, v8
	v_and_b32_e32 v9, 0xffff, v31
	s_delay_alu instid0(VALU_DEP_3) | instskip(NEXT) | instid1(VALU_DEP_2)
	v_pack_b32_f16 v10, v10, v45
	v_lshlrev_b32_e32 v9, 2, v9
	ds_store_2addr_b32 v9, v10, v8 offset1:7
	v_mov_b32_e32 v10, v9
	v_pack_b32_f16 v8, v13, v46
	v_pack_b32_f16 v9, v44, v15
	v_lshrrev_b32_e32 v13, 16, v16
	s_clause 0x1
	scratch_store_b32 off, v65, off offset:144
	scratch_store_b32 off, v10, off offset:148
	ds_store_2addr_b32 v10, v8, v9 offset0:14 offset1:21
	v_lshrrev_b32_e32 v8, 16, v14
	v_lshrrev_b32_e32 v120, 16, v50
	;; [unrolled: 1-line block ×6, first 2 shown]
	v_mul_f16_e32 v9, v8, v120
	v_mul_f16_e32 v10, v14, v120
	v_mul_f16_e64 v15, v16, v189
	v_lshrrev_b32_e32 v198, 16, v175
	v_lshrrev_b32_e32 v200, 16, v174
	v_fma_f16 v9, v14, v50, -v9
	v_mul_f16_e64 v14, v13, v189
	v_fmac_f16_e32 v15, v13, v52
	v_lshrrev_b32_e32 v13, 16, v19
	v_fmac_f16_e32 v10, v8, v50
	v_mad_u16 v8, v49, 28, v59
	v_fma_f16 v14, v16, v52, -v14
	v_mul_f16_e32 v16, v19, v109
	v_lshrrev_b32_e32 v49, 16, v176
	v_sub_f16_e32 v15, v10, v15
	v_and_b32_e32 v8, 0xffff, v8
	v_sub_f16_e32 v14, v9, v14
	v_fmac_f16_e32 v16, v13, v51
	v_mul_f16_e32 v13, v13, v109
	v_fma_f16 v10, v10, 2.0, -v15
	v_lshlrev_b32_e32 v8, 2, v8
	v_fma_f16 v9, v9, 2.0, -v14
	v_lshrrev_b32_e32 v48, 16, v173
	v_fma_f16 v13, v19, v51, -v13
	v_lshrrev_b32_e32 v19, 16, v17
	v_lshrrev_b32_e32 v205, 16, v39
	;; [unrolled: 1-line block ×4, first 2 shown]
	v_sub_f16_e32 v13, v17, v13
	v_sub_f16_e32 v16, v19, v16
	v_lshrrev_b32_e32 v208, 16, v36
	v_lshrrev_b32_e32 v209, 16, v37
	;; [unrolled: 1-line block ×3, first 2 shown]
	v_fma_f16 v17, v17, 2.0, -v13
	v_fma_f16 v19, v19, 2.0, -v16
	v_sub_f16_e32 v15, v13, v15
	v_add_f16_e32 v14, v16, v14
	s_delay_alu instid0(VALU_DEP_4) | instskip(NEXT) | instid1(VALU_DEP_4)
	v_sub_f16_e32 v9, v17, v9
	v_sub_f16_e32 v10, v19, v10
	s_delay_alu instid0(VALU_DEP_4) | instskip(NEXT) | instid1(VALU_DEP_4)
	v_fma_f16 v13, v13, 2.0, -v15
	v_fma_f16 v16, v16, 2.0, -v14
	s_delay_alu instid0(VALU_DEP_4) | instskip(NEXT) | instid1(VALU_DEP_4)
	v_fma_f16 v17, v17, 2.0, -v9
	v_fma_f16 v19, v19, 2.0, -v10
	s_delay_alu instid0(VALU_DEP_3) | instskip(SKIP_1) | instid1(VALU_DEP_3)
	v_pack_b32_f16 v13, v13, v16
	v_lshrrev_b32_e32 v16, 16, v29
	v_pack_b32_f16 v17, v17, v19
	ds_store_2addr_b32 v8, v17, v13 offset1:7
	v_mov_b32_e32 v13, v8
	v_pack_b32_f16 v8, v9, v10
	v_pack_b32_f16 v9, v15, v14
	v_lshrrev_b32_e32 v14, 16, v21
	v_mul_f16_e32 v15, v21, v49
	v_mul_f16_e32 v17, v29, v106
	;; [unrolled: 1-line block ×3, first 2 shown]
	ds_store_2addr_b32 v13, v8, v9 offset0:14 offset1:21
	v_lshrrev_b32_e32 v8, 16, v20
	v_fmac_f16_e64 v15, v14, v176
	v_mul_f16_e32 v14, v14, v49
	v_fmac_f16_e64 v17, v16, v178
	v_mul_f16_e32 v16, v16, v106
	v_mul_f16_e32 v9, v8, v23
	v_fmac_f16_e64 v10, v8, v177
	v_fma_f16 v14, v21, v176, -v14
	v_sub_f16_e32 v17, v15, v17
	v_fma_f16 v16, v29, v178, -v16
	v_fma_f16 v9, v20, v177, -v9
	scratch_store_b32 off, v13, off offset:152 ; 4-byte Folded Spill
	v_fma_f16 v15, v15, 2.0, -v17
	v_sub_f16_e32 v16, v14, v16
	v_sub_f16_e32 v8, v18, v9
	v_lshrrev_b32_e32 v9, 16, v18
	s_delay_alu instid0(VALU_DEP_3) | instskip(NEXT) | instid1(VALU_DEP_3)
	v_fma_f16 v14, v14, 2.0, -v16
	v_fma_f16 v13, v18, 2.0, -v8
	s_delay_alu instid0(VALU_DEP_3) | instskip(NEXT) | instid1(VALU_DEP_2)
	v_sub_f16_e32 v10, v9, v10
	v_sub_f16_e32 v14, v13, v14
	s_delay_alu instid0(VALU_DEP_2) | instskip(SKIP_1) | instid1(VALU_DEP_3)
	v_fma_f16 v9, v9, 2.0, -v10
	v_add_f16_e32 v16, v10, v16
	v_fma_f16 v13, v13, 2.0, -v14
	s_delay_alu instid0(VALU_DEP_3) | instskip(NEXT) | instid1(VALU_DEP_3)
	v_sub_f16_e32 v15, v9, v15
	v_fma_f16 v10, v10, 2.0, -v16
	s_delay_alu instid0(VALU_DEP_2) | instskip(NEXT) | instid1(VALU_DEP_1)
	v_fma_f16 v9, v9, 2.0, -v15
	v_pack_b32_f16 v9, v13, v9
	v_sub_f16_e32 v13, v8, v17
	s_delay_alu instid0(VALU_DEP_1) | instskip(NEXT) | instid1(VALU_DEP_1)
	v_fma_f16 v8, v8, 2.0, -v13
	v_pack_b32_f16 v8, v8, v10
	v_and_b32_e32 v10, 0xffff, v11
	v_lshrrev_b32_e32 v11, 16, v30
	s_delay_alu instid0(VALU_DEP_2)
	v_lshlrev_b32_e32 v10, 2, v10
	ds_store_2addr_b32 v10, v9, v8 offset1:7
	v_pack_b32_f16 v8, v14, v15
	v_pack_b32_f16 v9, v13, v16
	v_mul_f16_e64 v14, v30, v198
	v_mul_f16_e64 v13, v11, v198
	;; [unrolled: 1-line block ×3, first 2 shown]
	scratch_store_b32 off, v10, off offset:156 ; 4-byte Folded Spill
	ds_store_2addr_b32 v10, v8, v9 offset0:14 offset1:21
	v_lshrrev_b32_e32 v8, 16, v22
	v_fmac_f16_e64 v14, v11, v175
	v_lshrrev_b32_e32 v11, 16, v55
	v_mul_f16_e32 v10, v22, v48
	v_fma_f16 v13, v30, v175, -v13
	v_mul_f16_e32 v9, v8, v48
	v_lshrrev_b32_e32 v16, 16, v53
	v_fmac_f16_e64 v15, v11, v174
	v_mul_f16_e64 v11, v11, v200
	v_fmac_f16_e64 v10, v8, v173
	v_fma_f16 v9, v22, v173, -v9
	v_mad_u16 v8, v60, 28, v62
	v_sub_f16_e32 v15, v16, v15
	v_fma_f16 v11, v55, v174, -v11
	v_sub_f16_e32 v14, v10, v14
	v_sub_f16_e32 v13, v9, v13
	v_and_b32_e32 v8, 0xffff, v8
	v_fma_f16 v16, v16, 2.0, -v15
	v_sub_f16_e32 v11, v53, v11
	v_fma_f16 v10, v10, 2.0, -v14
	v_fma_f16 v9, v9, 2.0, -v13
	v_add_f16_e32 v13, v15, v13
	v_lshlrev_b32_e32 v143, 2, v8
	v_fma_f16 v17, v53, 2.0, -v11
	v_sub_f16_e32 v10, v16, v10
	v_sub_f16_e32 v14, v11, v14
	v_fma_f16 v15, v15, 2.0, -v13
	v_add_nc_u32_e32 v22, 0xf00, v154
	v_sub_f16_e32 v9, v17, v9
	v_fma_f16 v16, v16, 2.0, -v10
	v_fma_f16 v11, v11, 2.0, -v14
	s_delay_alu instid0(VALU_DEP_3) | instskip(SKIP_2) | instid1(VALU_DEP_4)
	v_fma_f16 v17, v17, 2.0, -v9
	v_pack_b32_f16 v8, v9, v10
	v_pack_b32_f16 v9, v14, v13
	;; [unrolled: 1-line block ×3, first 2 shown]
	v_lshrrev_b32_e32 v14, 16, v57
	v_pack_b32_f16 v16, v17, v16
	v_mul_f16_e64 v15, v57, v207
	ds_store_2addr_b32 v143, v8, v9 offset0:14 offset1:21
	v_lshrrev_b32_e32 v8, 16, v56
	v_mul_f16_e64 v17, v3, v206
	ds_store_2addr_b32 v143, v16, v11 offset1:7
	v_lshrrev_b32_e32 v16, 16, v3
	v_mul_f16_e64 v10, v56, v205
	v_mul_f16_e64 v9, v8, v205
	v_fmac_f16_e32 v15, v14, v38
	v_mul_f16_e64 v14, v14, v207
	v_fmac_f16_e32 v17, v16, v40
	v_mul_f16_e64 v16, v16, v206
	v_fma_f16 v9, v56, v39, -v9
	v_fmac_f16_e32 v10, v8, v39
	v_fma_f16 v14, v57, v38, -v14
	v_mad_u16 v13, v63, 28, v64
	v_fma_f16 v3, v3, v40, -v16
	v_sub_f16_e32 v8, v54, v9
	v_lshrrev_b32_e32 v9, 16, v54
	v_sub_f16_e32 v16, v15, v17
	s_delay_alu instid0(VALU_DEP_4) | instskip(NEXT) | instid1(VALU_DEP_4)
	v_sub_f16_e32 v3, v14, v3
	v_fma_f16 v11, v54, 2.0, -v8
	s_delay_alu instid0(VALU_DEP_4) | instskip(NEXT) | instid1(VALU_DEP_4)
	v_sub_f16_e32 v10, v9, v10
	v_fma_f16 v15, v15, 2.0, -v16
	s_delay_alu instid0(VALU_DEP_4) | instskip(NEXT) | instid1(VALU_DEP_3)
	v_fma_f16 v14, v14, 2.0, -v3
	v_fma_f16 v9, v9, 2.0, -v10
	v_add_f16_e32 v3, v10, v3
	s_delay_alu instid0(VALU_DEP_3) | instskip(NEXT) | instid1(VALU_DEP_3)
	v_sub_f16_e32 v14, v11, v14
	v_sub_f16_e32 v15, v9, v15
	s_delay_alu instid0(VALU_DEP_3) | instskip(NEXT) | instid1(VALU_DEP_3)
	v_fma_f16 v10, v10, 2.0, -v3
	v_fma_f16 v11, v11, 2.0, -v14
	s_delay_alu instid0(VALU_DEP_3) | instskip(NEXT) | instid1(VALU_DEP_1)
	v_fma_f16 v9, v9, 2.0, -v15
	v_pack_b32_f16 v9, v11, v9
	v_sub_f16_e32 v11, v8, v16
	s_delay_alu instid0(VALU_DEP_1) | instskip(SKIP_1) | instid1(VALU_DEP_2)
	v_fma_f16 v8, v8, 2.0, -v11
	v_pack_b32_f16 v3, v11, v3
	v_pack_b32_f16 v8, v8, v10
	v_and_b32_e32 v10, 0xffff, v13
	v_lshrrev_b32_e32 v13, 16, v4
	s_delay_alu instid0(VALU_DEP_2)
	v_lshlrev_b32_e32 v126, 2, v10
	v_lshrrev_b32_e32 v10, 16, v2
	ds_store_2addr_b32 v126, v9, v8 offset1:7
	v_pack_b32_f16 v8, v14, v15
	v_mul_f16_e64 v11, v10, v208
	v_mul_f16_e64 v14, v13, v209
	;; [unrolled: 1-line block ×3, first 2 shown]
	ds_store_2addr_b32 v126, v8, v3 offset0:14 offset1:21
	v_lshrrev_b32_e32 v3, 16, v58
	v_fma_f16 v11, v2, v36, -v11
	v_mul_f16_e64 v2, v2, v208
	v_fma_f16 v14, v4, v37, -v14
	v_mul_f16_e64 v4, v4, v209
	v_mul_f16_e64 v8, v3, v210
	v_fmac_f16_e32 v9, v3, v35
	v_fmac_f16_e32 v2, v10, v36
	v_lshrrev_b32_e32 v10, 16, v0
	v_fmac_f16_e32 v4, v13, v37
	v_fma_f16 v8, v58, v35, -v8
	v_sub_f16_e32 v3, v0, v11
	s_delay_alu instid0(VALU_DEP_4) | instskip(NEXT) | instid1(VALU_DEP_4)
	v_sub_f16_e32 v2, v10, v2
	v_sub_f16_e32 v4, v9, v4
	s_delay_alu instid0(VALU_DEP_4) | instskip(NEXT) | instid1(VALU_DEP_4)
	v_sub_f16_e32 v7, v8, v14
	v_fma_f16 v0, v0, 2.0, -v3
	s_delay_alu instid0(VALU_DEP_4) | instskip(NEXT) | instid1(VALU_DEP_4)
	v_fma_f16 v10, v10, 2.0, -v2
	v_fma_f16 v9, v9, 2.0, -v4
	s_delay_alu instid0(VALU_DEP_4) | instskip(SKIP_2) | instid1(VALU_DEP_4)
	v_fma_f16 v8, v8, 2.0, -v7
	v_sub_f16_e32 v4, v3, v4
	v_add_f16_e32 v7, v2, v7
	v_sub_f16_e32 v9, v10, v9
	s_delay_alu instid0(VALU_DEP_4) | instskip(NEXT) | instid1(VALU_DEP_4)
	v_sub_f16_e32 v8, v0, v8
	v_fma_f16 v3, v3, 2.0, -v4
	s_delay_alu instid0(VALU_DEP_4) | instskip(SKIP_3) | instid1(VALU_DEP_4)
	v_fma_f16 v2, v2, 2.0, -v7
	v_pack_b32_f16 v1, v4, v7
	v_fma_f16 v10, v10, 2.0, -v9
	v_fma_f16 v0, v0, 2.0, -v8
	v_pack_b32_f16 v2, v3, v2
	s_delay_alu instid0(VALU_DEP_2)
	v_pack_b32_f16 v0, v0, v10
	ds_store_2addr_b32 v111, v0, v2 offset1:7
	v_pack_b32_f16 v0, v8, v9
	ds_store_2addr_b32 v111, v0, v1 offset0:14 offset1:21
	v_lshrrev_b16 v0, 2, v6
	v_lshrrev_b16 v1, 2, v5
	global_wb scope:SCOPE_SE
	s_wait_storecnt_dscnt 0x0
	s_barrier_signal -1
	s_barrier_wait -1
	v_mul_lo_u16 v0, v0, 37
	v_and_b32_e32 v1, 0xffff, v1
	global_inv scope:SCOPE_SE
	v_lshrrev_b16 v13, 8, v0
	v_mul_u32_u24_e32 v1, 0x4925, v1
	s_delay_alu instid0(VALU_DEP_2) | instskip(NEXT) | instid1(VALU_DEP_2)
	v_mul_lo_u16 v0, v13, 28
	v_lshrrev_b32_e32 v29, 17, v1
	v_and_b32_e32 v13, 0xffff, v13
	s_delay_alu instid0(VALU_DEP_3) | instskip(NEXT) | instid1(VALU_DEP_3)
	v_sub_nc_u16 v0, v12, v0
	v_mul_lo_u16 v1, v29, 28
	s_delay_alu instid0(VALU_DEP_3) | instskip(NEXT) | instid1(VALU_DEP_3)
	v_mul_u32_u24_e32 v13, 0xc4, v13
	v_and_b32_e32 v12, 0xff, v0
	s_delay_alu instid0(VALU_DEP_3) | instskip(NEXT) | instid1(VALU_DEP_2)
	v_sub_nc_u16 v30, v5, v1
	v_mad_co_u64_u32 v[0:1], null, v12, 24, s[6:7]
	s_clause 0x1
	global_load_b64 v[72:73], v[0:1], off offset:100
	global_load_b128 v[241:244], v[0:1], off offset:84
	ds_load_2addr_b32 v[4:5], v150 offset0:32 offset1:228
	ds_load_2addr_b32 v[6:7], v162 offset0:16 offset1:212
	;; [unrolled: 1-line block ×4, first 2 shown]
	ds_load_2addr_b32 v[55:56], v158 offset1:196
	ds_load_2addr_b32 v[57:58], v154 offset1:196
	v_add_lshl_u32 v185, v13, v12, 2
	s_wait_dscnt 0x5
	v_lshrrev_b32_e32 v2, 16, v4
	s_wait_dscnt 0x4
	v_lshrrev_b32_e32 v0, 16, v6
	s_wait_loadcnt 0x1
	v_lshrrev_b32_e32 v8, 16, v73
	s_wait_loadcnt 0x0
	v_lshrrev_b32_e32 v195, 16, v241
	v_lshrrev_b32_e32 v202, 16, v242
	;; [unrolled: 1-line block ×4, first 2 shown]
	v_mul_f16_e32 v3, v4, v8
	v_mul_f16_e64 v1, v6, v195
	v_lshrrev_b32_e32 v203, 16, v244
	s_delay_alu instid0(VALU_DEP_3)
	v_fmac_f16_e32 v3, v2, v73
	v_mul_f16_e32 v2, v2, v8
	ds_load_2addr_b32 v[8:9], v155 offset0:16 offset1:212
	v_fmac_f16_e64 v1, v0, v241
	v_mul_f16_e64 v0, v0, v195
	s_wait_dscnt 0x2
	v_mul_f16_e64 v15, v55, v203
	v_fma_f16 v2, v4, v73, -v2
	v_mul_f16_e64 v4, v10, v202
	v_fma_f16 v0, v6, v241, -v0
	s_delay_alu instid0(VALU_DEP_1)
	v_add_f16_e32 v16, v0, v2
	v_sub_f16_e32 v0, v0, v2
	v_add_f16_e32 v2, v1, v3
	v_sub_f16_e32 v1, v1, v3
	v_lshrrev_b32_e32 v3, 16, v10
	s_wait_dscnt 0x0
	v_lshrrev_b32_e32 v6, 16, v8
	v_mul_f16_e32 v14, v8, v103
	s_delay_alu instid0(VALU_DEP_3) | instskip(SKIP_1) | instid1(VALU_DEP_3)
	v_fmac_f16_e64 v4, v3, v242
	v_mul_f16_e64 v3, v3, v202
	v_fmac_f16_e32 v14, v6, v72
	v_mul_f16_e32 v6, v6, v103
	s_delay_alu instid0(VALU_DEP_3) | instskip(NEXT) | instid1(VALU_DEP_3)
	v_fma_f16 v3, v10, v242, -v3
	v_add_f16_e32 v10, v4, v14
	s_delay_alu instid0(VALU_DEP_3)
	v_fma_f16 v6, v8, v72, -v6
	v_sub_f16_e32 v17, v4, v14
	v_lshrrev_b32_e32 v4, 16, v53
	v_lshrrev_b32_e32 v14, 16, v55
	v_add_f16_e32 v13, v10, v2
	v_add_f16_e32 v8, v3, v6
	v_sub_f16_e32 v3, v3, v6
	v_mul_f16_e64 v6, v53, v204
	v_fmac_f16_e64 v15, v14, v244
	v_mul_f16_e64 v14, v14, v203
	v_add_f16_e32 v12, v8, v16
	s_delay_alu instid0(VALU_DEP_4) | instskip(SKIP_1) | instid1(VALU_DEP_4)
	v_fmac_f16_e64 v6, v4, v243
	v_mul_f16_e64 v4, v4, v204
	v_fma_f16 v14, v55, v244, -v14
	s_delay_alu instid0(VALU_DEP_2) | instskip(NEXT) | instid1(VALU_DEP_1)
	v_fma_f16 v4, v53, v243, -v4
	v_add_f16_e32 v18, v4, v14
	v_sub_f16_e32 v4, v14, v4
	v_add_f16_e32 v14, v6, v15
	v_sub_f16_e32 v6, v15, v6
	v_lshrrev_b32_e32 v15, 16, v57
	v_add_f16_e32 v12, v18, v12
	v_sub_f16_e32 v53, v0, v4
	v_add_f16_e32 v13, v14, v13
	v_sub_f16_e32 v31, v14, v10
	v_sub_f16_e32 v44, v6, v17
	v_add_f16_e32 v19, v57, v12
	v_sub_f16_e32 v55, v1, v6
	v_add_f16_e32 v15, v15, v13
	s_delay_alu instid0(VALU_DEP_4) | instskip(NEXT) | instid1(VALU_DEP_4)
	v_mul_f16_e32 v85, 0xb846, v44
	v_fmamk_f16 v20, v12, 0xbcab, v19
	v_sub_f16_e32 v12, v16, v18
	s_delay_alu instid0(VALU_DEP_4)
	v_fmamk_f16 v21, v13, 0xbcab, v15
	v_pack_b32_f16 v19, v19, v15
	v_sub_f16_e32 v18, v18, v8
	v_sub_f16_e32 v13, v2, v14
	v_add_f16_e32 v14, v4, v3
	v_sub_f16_e32 v15, v4, v3
	v_add_f16_e32 v4, v6, v17
	v_mul_f16_e32 v71, 0x3a52, v12
	v_mul_f16_e32 v77, 0x3a52, v13
	v_add_f16_e32 v57, v14, v0
	v_mul_f16_e32 v84, 0xb846, v15
	v_add_f16_e32 v76, v4, v1
	v_fmamk_f16 v4, v18, 0x2b26, v71
	v_fmamk_f16 v88, v55, 0x3574, v85
	v_sub_f16_e32 v0, v3, v0
	v_fmamk_f16 v89, v53, 0x3574, v84
	v_sub_f16_e32 v1, v17, v1
	v_add_f16_e32 v86, v4, v20
	v_fmamk_f16 v4, v31, 0x2b26, v77
	v_fmac_f16_e32 v88, 0x370e, v76
	v_fmac_f16_e32 v89, 0x370e, v57
	v_sub_f16_e32 v8, v8, v16
	v_sub_f16_e32 v2, v10, v2
	v_add_f16_e32 v87, v4, v21
	v_add_f16_e32 v4, v88, v86
	v_mul_f16_e32 v3, 0x2b26, v18
	v_mul_f16_e32 v10, 0x2b26, v31
	v_lshrrev_b32_e32 v17, 16, v5
	v_sub_f16_e32 v6, v87, v89
	s_delay_alu instid0(VALU_DEP_4) | instskip(SKIP_2) | instid1(VALU_DEP_4)
	v_fma_f16 v3, v8, 0x39e0, -v3
	v_fma_f16 v8, v8, 0xb9e0, -v71
	;; [unrolled: 1-line block ×3, first 2 shown]
	v_pack_b32_f16 v90, v4, v6
	v_mul_lo_u16 v4, v30, 24
	v_fma_f16 v2, v2, 0xb9e0, -v77
	v_add_f16_e32 v8, v8, v20
	v_add_f16_e32 v3, v3, v20
	;; [unrolled: 1-line block ×3, first 2 shown]
	v_and_b32_e32 v4, 0xffff, v4
	v_add_f16_e32 v2, v2, v21
	s_delay_alu instid0(VALU_DEP_2) | instskip(SKIP_3) | instid1(VALU_DEP_2)
	v_add_co_u32 v12, s2, s6, v4
	v_lshrrev_b16 v4, 2, v24
	s_wait_alu 0xf1ff
	v_add_co_ci_u32_e64 v13, null, s7, 0, s2
	v_and_b32_e32 v6, 0xffff, v4
	v_lshrrev_b16 v4, 2, v25
	s_delay_alu instid0(VALU_DEP_2) | instskip(NEXT) | instid1(VALU_DEP_2)
	v_mul_u32_u24_e32 v14, 0x4925, v6
	v_and_b32_e32 v4, 0xffff, v4
	s_delay_alu instid0(VALU_DEP_2) | instskip(NEXT) | instid1(VALU_DEP_2)
	v_lshrrev_b32_e32 v91, 17, v14
	v_mul_u32_u24_e32 v14, 0x4925, v4
	s_delay_alu instid0(VALU_DEP_1) | instskip(NEXT) | instid1(VALU_DEP_3)
	v_lshrrev_b32_e32 v92, 17, v14
	v_mul_lo_u16 v14, v91, 28
	s_delay_alu instid0(VALU_DEP_1) | instskip(NEXT) | instid1(VALU_DEP_3)
	v_sub_nc_u16 v94, v24, v14
	v_mul_lo_u16 v14, v92, 28
	s_delay_alu instid0(VALU_DEP_1) | instskip(NEXT) | instid1(VALU_DEP_3)
	v_sub_nc_u16 v95, v25, v14
	v_mul_lo_u16 v14, v94, 24
	s_delay_alu instid0(VALU_DEP_2) | instskip(NEXT) | instid1(VALU_DEP_2)
	v_mul_lo_u16 v15, v95, 24
	v_and_b32_e32 v14, 0xffff, v14
	s_delay_alu instid0(VALU_DEP_2) | instskip(NEXT) | instid1(VALU_DEP_2)
	v_and_b32_e32 v44, 0xffff, v15
	v_add_co_u32 v14, s2, s6, v14
	s_wait_alu 0xf1ff
	v_add_co_ci_u32_e64 v15, null, s7, 0, s2
	s_delay_alu instid0(VALU_DEP_3)
	v_add_co_u32 v59, s2, s6, v44
	s_wait_alu 0xf1ff
	v_add_co_ci_u32_e64 v60, null, s7, 0, s2
	s_clause 0x5
	global_load_b64 v[82:83], v[12:13], off offset:100
	global_load_b128 v[181:184], v[12:13], off offset:84
	global_load_b64 v[80:81], v[14:15], off offset:100
	global_load_b128 v[190:193], v[14:15], off offset:84
	;; [unrolled: 2-line block ×3, first 2 shown]
	v_fma_f16 v12, v0, 0x3b00, -v84
	v_mul_f16_e32 v0, 0xbb00, v0
	v_fma_f16 v13, v1, 0x3b00, -v85
	v_mul_f16_e32 v1, 0xbb00, v1
	ds_load_2addr_b32 v[59:60], v124 offset0:8 offset1:204
	ds_load_2addr_b32 v[61:62], v128 offset0:24 offset1:220
	;; [unrolled: 1-line block ×7, first 2 shown]
	v_fmac_f16_e32 v12, 0x370e, v57
	v_fmac_f16_e32 v0, 0xb574, v53
	;; [unrolled: 1-line block ×4, first 2 shown]
	global_wb scope:SCOPE_SE
	s_wait_loadcnt_dscnt 0x0
	v_add_f16_e32 v16, v12, v10
	v_fmac_f16_e32 v0, 0x370e, v57
	v_sub_f16_e32 v10, v10, v12
	v_fmac_f16_e32 v1, 0x370e, v76
	s_barrier_signal -1
	s_barrier_wait -1
	v_sub_f16_e32 v15, v2, v0
	v_add_f16_e32 v0, v0, v2
	v_add_f16_e32 v14, v1, v8
	v_sub_f16_e32 v1, v8, v1
	global_inv scope:SCOPE_SE
	v_lshrrev_b32_e32 v8, 16, v54
	v_lshrrev_b32_e32 v12, 16, v56
	v_pack_b32_f16 v14, v14, v15
	v_sub_f16_e32 v15, v3, v13
	v_add_f16_e32 v3, v13, v3
	v_pack_b32_f16 v0, v1, v0
	ds_store_2addr_b32 v185, v19, v90 offset1:28
	v_pack_b32_f16 v15, v15, v16
	v_pack_b32_f16 v2, v3, v10
	ds_store_2addr_b32 v185, v14, v15 offset0:56 offset1:84
	ds_store_2addr_b32 v185, v2, v0 offset0:112 offset1:140
	v_lshrrev_b32_e32 v0, 16, v7
	v_lshrrev_b32_e32 v15, 16, v9
	;; [unrolled: 1-line block ×7, first 2 shown]
	v_mul_f16_e64 v16, v15, v236
	v_mul_f16_e32 v2, v7, v93
	v_mul_f16_e32 v1, v0, v93
	v_mul_f16_e64 v18, v17, v237
	v_lshrrev_b32_e32 v97, 16, v184
	v_fma_f16 v16, v9, v82, -v16
	v_fmac_f16_e64 v2, v0, v181
	v_lshrrev_b32_e32 v0, 16, v11
	v_fma_f16 v1, v7, v181, -v1
	v_mul_f16_e32 v7, v11, v96
	v_mul_f16_e64 v9, v9, v236
	v_fma_f16 v18, v5, v83, -v18
	v_mul_f16_e32 v3, v0, v96
	v_mul_f16_e64 v5, v5, v237
	v_mul_f16_e32 v10, v8, v99
	v_mul_f16_e32 v13, v12, v97
	;; [unrolled: 1-line block ×3, first 2 shown]
	v_fma_f16 v3, v11, v182, -v3
	v_mul_f16_e32 v11, v54, v99
	v_fmac_f16_e64 v7, v0, v182
	v_fmac_f16_e32 v9, v15, v82
	v_fmac_f16_e32 v5, v17, v83
	v_fma_f16 v10, v54, v183, -v10
	v_fma_f16 v13, v56, v184, -v13
	v_fmac_f16_e64 v11, v8, v183
	v_fmac_f16_e64 v14, v12, v184
	v_sub_f16_e32 v0, v86, v88
	v_add_f16_e32 v8, v89, v87
	v_add_f16_e32 v12, v1, v18
	;; [unrolled: 1-line block ×3, first 2 shown]
	v_sub_f16_e32 v2, v2, v5
	v_add_f16_e32 v5, v3, v16
	v_sub_f16_e32 v3, v3, v16
	v_add_f16_e32 v16, v7, v9
	v_sub_f16_e32 v1, v1, v18
	v_sub_f16_e32 v7, v7, v9
	v_add_f16_e32 v9, v10, v13
	v_sub_f16_e32 v10, v13, v10
	v_add_f16_e32 v13, v11, v14
	v_pack_b32_f16 v0, v0, v8
	v_add_f16_e32 v8, v5, v12
	v_add_f16_e32 v18, v16, v15
	v_sub_f16_e32 v11, v14, v11
	v_lshrrev_b32_e32 v14, 16, v58
	v_add_f16_e32 v20, v10, v3
	v_add_f16_e32 v8, v9, v8
	;; [unrolled: 1-line block ×3, first 2 shown]
	v_sub_f16_e32 v21, v10, v3
	ds_store_b32 v185, v0 offset:672
	v_mad_u16 v0, 0xc4, v29, v30
	v_add_f16_e32 v17, v58, v8
	v_add_f16_e32 v14, v14, v18
	v_sub_f16_e32 v10, v1, v10
	v_add_f16_e32 v29, v11, v7
	v_sub_f16_e32 v30, v11, v7
	v_fmamk_f16 v8, v8, 0xbcab, v17
	v_fmamk_f16 v18, v18, 0xbcab, v14
	v_pack_b32_f16 v14, v17, v14
	v_sub_f16_e32 v17, v12, v9
	v_sub_f16_e32 v9, v9, v5
	v_add_f16_e32 v20, v20, v1
	v_mul_f16_e32 v21, 0xb846, v21
	v_sub_f16_e32 v1, v3, v1
	v_mul_f16_e32 v17, 0x3a52, v17
	v_sub_f16_e32 v19, v15, v13
	v_sub_f16_e32 v13, v13, v16
	v_sub_f16_e32 v11, v2, v11
	v_add_f16_e32 v29, v29, v2
	v_mul_f16_e32 v30, 0xb846, v30
	v_fmamk_f16 v31, v9, 0x2b26, v17
	v_and_b32_e32 v0, 0xffff, v0
	v_sub_f16_e32 v2, v7, v2
	v_mul_f16_e32 v3, 0x2b26, v9
	v_fma_f16 v9, v1, 0x3b00, -v21
	v_mul_f16_e32 v1, 0xbb00, v1
	v_mul_f16_e32 v19, 0x3a52, v19
	v_fmamk_f16 v55, v10, 0x3574, v21
	v_lshlrev_b32_e32 v196, 2, v0
	v_sub_f16_e32 v0, v5, v12
	v_sub_f16_e32 v5, v16, v15
	v_mul_f16_e32 v7, 0x2b26, v13
	v_fmac_f16_e32 v1, 0xb574, v10
	v_fma_f16 v10, v2, 0x3b00, -v30
	v_mul_f16_e32 v2, 0xbb00, v2
	v_fma_f16 v3, v0, 0x39e0, -v3
	v_fma_f16 v0, v0, 0xb9e0, -v17
	;; [unrolled: 1-line block ×4, first 2 shown]
	v_fmac_f16_e32 v2, 0xb574, v11
	v_fmac_f16_e32 v1, 0x370e, v20
	v_add_f16_e32 v0, v0, v8
	v_add_f16_e32 v31, v31, v8
	;; [unrolled: 1-line block ×3, first 2 shown]
	v_fmac_f16_e32 v2, 0x370e, v29
	v_fmamk_f16 v54, v11, 0x3574, v30
	v_add_f16_e32 v3, v3, v8
	v_add_f16_e32 v7, v7, v18
	v_fmac_f16_e32 v9, 0x370e, v20
	v_fmac_f16_e32 v10, 0x370e, v29
	v_add_f16_e32 v8, v2, v0
	v_sub_f16_e32 v11, v5, v1
	v_sub_f16_e32 v0, v0, v2
	v_add_f16_e32 v12, v9, v7
	v_sub_f16_e32 v7, v7, v9
	v_add_f16_e32 v1, v1, v5
	v_pack_b32_f16 v8, v8, v11
	v_sub_f16_e32 v11, v3, v10
	v_add_f16_e32 v3, v10, v3
	v_lshrrev_b32_e32 v105, 16, v190
	v_pack_b32_f16 v0, v0, v1
	v_lshrrev_b32_e32 v245, 16, v81
	v_lshrrev_b32_e32 v5, 16, v74
	v_pack_b32_f16 v2, v3, v7
	v_mul_f16_e32 v3, v61, v105
	v_fmamk_f16 v53, v13, 0x2b26, v19
	v_mul_f16_e64 v7, v74, v245
	v_pack_b32_f16 v11, v11, v12
	ds_store_2addr_b32 v196, v2, v0 offset0:112 offset1:140
	v_lshrrev_b32_e32 v2, 16, v61
	v_lshrrev_b32_e32 v110, 16, v191
	v_fmac_f16_e32 v7, v5, v81
	v_mul_f16_e64 v5, v5, v245
	v_lshrrev_b32_e32 v249, 16, v80
	v_fmac_f16_e64 v3, v2, v190
	v_mul_f16_e32 v2, v2, v105
	v_add_f16_e32 v53, v53, v18
	v_fma_f16 v5, v74, v81, -v5
	v_fmac_f16_e32 v54, 0x370e, v29
	v_fmac_f16_e32 v55, 0x370e, v20
	v_fma_f16 v2, v61, v190, -v2
	ds_store_2addr_b32 v196, v8, v11 offset0:56 offset1:84
	v_mul_f16_e32 v9, v63, v110
	v_lshrrev_b32_e32 v10, 16, v69
	v_mul_f16_e64 v11, v69, v249
	v_add_f16_e32 v8, v2, v5
	v_sub_f16_e32 v2, v2, v5
	v_add_f16_e32 v5, v3, v7
	v_sub_f16_e32 v3, v3, v7
	v_lshrrev_b32_e32 v7, 16, v63
	v_add_f16_e32 v56, v54, v31
	v_sub_f16_e32 v57, v53, v55
	v_fmac_f16_e32 v11, v10, v80
	v_mul_f16_e64 v10, v10, v249
	v_fmac_f16_e64 v9, v7, v191
	v_mul_f16_e32 v7, v7, v110
	v_pack_b32_f16 v56, v56, v57
	v_sub_f16_e32 v0, v31, v54
	v_add_f16_e32 v1, v55, v53
	v_fma_f16 v10, v69, v80, -v10
	v_fma_f16 v7, v63, v191, -v7
	v_lshrrev_b32_e32 v114, 16, v192
	v_lshrrev_b32_e32 v113, 16, v193
	ds_store_2addr_b32 v196, v14, v56 offset1:28
	v_pack_b32_f16 v0, v0, v1
	v_add_f16_e32 v12, v7, v10
	v_sub_f16_e32 v7, v7, v10
	v_add_f16_e32 v10, v9, v11
	v_sub_f16_e32 v9, v9, v11
	v_lshrrev_b32_e32 v1, 16, v65
	v_mul_f16_e32 v11, v65, v114
	v_lshrrev_b32_e32 v13, 16, v67
	v_mul_f16_e32 v14, v67, v113
	v_add_f16_e32 v16, v10, v5
	v_lshrrev_b32_e32 v17, 16, v59
	v_fmac_f16_e64 v11, v1, v192
	v_mul_f16_e32 v1, v1, v114
	v_fmac_f16_e64 v14, v13, v193
	v_mul_f16_e32 v13, v13, v113
	ds_store_b32 v196, v0 offset:672
	v_mad_u16 v0, 0xc4, v91, v94
	v_fma_f16 v1, v65, v192, -v1
	v_lshrrev_b32_e32 v164, 16, v44
	v_fma_f16 v13, v67, v193, -v13
	v_lshrrev_b32_e32 v165, 16, v45
	v_and_b32_e32 v0, 0xffff, v0
	v_lshrrev_b32_e32 v146, 16, v78
	v_lshrrev_b32_e32 v131, 16, v79
	v_add_f16_e32 v15, v1, v13
	v_sub_f16_e32 v1, v13, v1
	v_add_f16_e32 v13, v11, v14
	v_sub_f16_e32 v11, v14, v11
	v_add_f16_e32 v14, v12, v8
	v_lshlrev_b32_e32 v199, 2, v0
	v_add_f16_e32 v20, v1, v7
	v_add_f16_e32 v16, v13, v16
	v_sub_f16_e32 v21, v1, v7
	v_add_f16_e32 v14, v15, v14
	v_sub_f16_e32 v1, v2, v1
	v_add_f16_e32 v29, v11, v9
	v_add_f16_e32 v17, v17, v16
	v_sub_f16_e32 v30, v11, v9
	v_add_f16_e32 v18, v59, v14
	v_add_f16_e32 v20, v20, v2
	v_mul_f16_e32 v21, 0xb846, v21
	v_sub_f16_e32 v2, v7, v2
	v_fmamk_f16 v16, v16, 0xbcab, v17
	v_fmamk_f16 v14, v14, 0xbcab, v18
	v_pack_b32_f16 v17, v18, v17
	v_sub_f16_e32 v18, v8, v15
	v_sub_f16_e32 v15, v15, v12
	;; [unrolled: 1-line block ×5, first 2 shown]
	v_add_f16_e32 v29, v29, v3
	v_mul_f16_e32 v30, 0xb846, v30
	v_sub_f16_e32 v3, v9, v3
	v_fma_f16 v9, v2, 0x3b00, -v21
	v_mul_f16_e32 v2, 0xbb00, v2
	v_mul_f16_e32 v18, 0x3a52, v18
	;; [unrolled: 1-line block ×3, first 2 shown]
	v_fmamk_f16 v55, v1, 0x3574, v21
	v_sub_f16_e32 v0, v12, v8
	v_sub_f16_e32 v5, v10, v5
	v_mul_f16_e32 v7, 0x2b26, v15
	v_mul_f16_e32 v8, 0x2b26, v13
	v_fmac_f16_e32 v2, 0xb574, v1
	v_fma_f16 v1, v3, 0x3b00, -v30
	v_mul_f16_e32 v3, 0xbb00, v3
	v_fma_f16 v7, v0, 0x39e0, -v7
	v_fma_f16 v0, v0, 0xb9e0, -v18
	;; [unrolled: 1-line block ×4, first 2 shown]
	v_fmac_f16_e32 v3, 0xb574, v11
	v_fmac_f16_e32 v2, 0x370e, v20
	v_add_f16_e32 v0, v0, v14
	v_fmamk_f16 v54, v11, 0x3574, v30
	v_add_f16_e32 v5, v5, v16
	v_fmac_f16_e32 v3, 0x370e, v29
	v_add_f16_e32 v7, v7, v14
	v_add_f16_e32 v8, v8, v16
	v_fmac_f16_e32 v9, 0x370e, v20
	v_fmac_f16_e32 v1, 0x370e, v29
	v_add_f16_e32 v10, v3, v0
	v_sub_f16_e32 v11, v5, v2
	v_fmamk_f16 v31, v15, 0x2b26, v18
	v_fmamk_f16 v53, v13, 0x2b26, v19
	v_sub_f16_e32 v0, v0, v3
	v_add_f16_e32 v2, v2, v5
	v_pack_b32_f16 v10, v10, v11
	v_sub_f16_e32 v11, v7, v1
	v_add_f16_e32 v1, v1, v7
	v_sub_f16_e32 v7, v8, v9
	v_add_f16_e32 v31, v31, v14
	v_add_f16_e32 v53, v53, v16
	v_fmac_f16_e32 v54, 0x370e, v29
	v_fmac_f16_e32 v55, 0x370e, v20
	v_pack_b32_f16 v1, v1, v7
	v_pack_b32_f16 v0, v0, v2
	v_add_f16_e32 v12, v9, v8
	v_add_f16_e32 v56, v54, v31
	v_sub_f16_e32 v57, v53, v55
	v_mul_f16_e64 v2, v62, v164
	ds_store_2addr_b32 v199, v1, v0 offset0:112 offset1:140
	v_lshrrev_b32_e32 v0, 16, v62
	v_pack_b32_f16 v11, v11, v12
	v_pack_b32_f16 v56, v56, v57
	v_lshrrev_b32_e32 v13, 16, v70
	v_lshrrev_b32_e32 v16, 16, v75
	v_mul_f16_e64 v1, v0, v164
	v_fmac_f16_e32 v2, v0, v44
	v_lshrrev_b32_e32 v0, 16, v64
	ds_store_2addr_b32 v199, v17, v56 offset1:28
	ds_store_2addr_b32 v199, v10, v11 offset0:56 offset1:84
	v_mul_f16_e64 v5, v64, v165
	v_lshrrev_b32_e32 v7, 16, v66
	v_mul_f16_e64 v3, v0, v165
	v_lshrrev_b32_e32 v163, 16, v46
	v_lshrrev_b32_e32 v10, 16, v68
	;; [unrolled: 1-line block ×3, first 2 shown]
	v_mul_f16_e64 v14, v13, v146
	v_mul_f16_e64 v15, v70, v146
	;; [unrolled: 1-line block ×4, first 2 shown]
	v_fma_f16 v1, v62, v44, -v1
	v_fma_f16 v3, v64, v45, -v3
	v_mul_f16_e64 v8, v7, v163
	v_mul_f16_e64 v9, v66, v163
	;; [unrolled: 1-line block ×4, first 2 shown]
	v_fma_f16 v14, v70, v78, -v14
	v_fma_f16 v17, v75, v79, -v17
	v_fmac_f16_e32 v5, v0, v45
	v_fmac_f16_e32 v15, v13, v78
	;; [unrolled: 1-line block ×3, first 2 shown]
	v_fma_f16 v8, v66, v46, -v8
	v_fma_f16 v11, v68, v47, -v11
	v_fmac_f16_e32 v9, v7, v46
	v_fmac_f16_e32 v12, v10, v47
	v_sub_f16_e32 v0, v31, v54
	v_add_f16_e32 v7, v55, v53
	v_add_f16_e32 v10, v1, v17
	v_add_f16_e32 v13, v2, v18
	v_add_f16_e32 v16, v3, v14
	v_sub_f16_e32 v3, v3, v14
	v_add_f16_e32 v14, v5, v15
	v_sub_f16_e32 v2, v2, v18
	v_sub_f16_e32 v5, v5, v15
	v_add_f16_e32 v15, v8, v11
	v_sub_f16_e32 v8, v11, v8
	v_add_f16_e32 v11, v9, v12
	v_pack_b32_f16 v0, v0, v7
	v_add_f16_e32 v7, v16, v10
	v_add_f16_e32 v18, v14, v13
	v_sub_f16_e32 v9, v12, v9
	v_lshrrev_b32_e32 v12, 16, v60
	v_sub_f16_e32 v1, v1, v17
	v_add_f16_e32 v7, v15, v7
	v_add_f16_e32 v18, v11, v18
	v_sub_f16_e32 v19, v13, v11
	v_add_f16_e32 v20, v8, v3
	v_sub_f16_e32 v21, v8, v3
	v_add_f16_e32 v17, v60, v7
	v_add_f16_e32 v12, v12, v18
	ds_store_b32 v199, v0 offset:672
	v_mad_u16 v0, 0xc4, v92, v95
	v_sub_f16_e32 v11, v11, v14
	v_fmamk_f16 v7, v7, 0xbcab, v17
	v_fmamk_f16 v18, v18, 0xbcab, v12
	v_pack_b32_f16 v12, v17, v12
	v_sub_f16_e32 v17, v10, v15
	v_sub_f16_e32 v8, v1, v8
	v_add_f16_e32 v29, v9, v5
	v_sub_f16_e32 v30, v9, v5
	v_add_f16_e32 v20, v20, v1
	v_mul_f16_e32 v19, 0x3a52, v19
	v_mul_f16_e32 v21, 0xb846, v21
	v_sub_f16_e32 v1, v3, v1
	v_sub_f16_e32 v15, v15, v16
	;; [unrolled: 1-line block ×3, first 2 shown]
	v_mul_f16_e32 v17, 0x3a52, v17
	v_add_f16_e32 v29, v29, v2
	v_mul_f16_e32 v30, 0xb846, v30
	v_fmamk_f16 v53, v11, 0x2b26, v19
	v_and_b32_e32 v0, 0xffff, v0
	v_sub_f16_e32 v2, v5, v2
	v_mul_f16_e32 v5, 0x2b26, v11
	v_fma_f16 v11, v1, 0x3b00, -v21
	v_mul_f16_e32 v1, 0xbb00, v1
	v_fmamk_f16 v31, v15, 0x2b26, v17
	v_fmamk_f16 v54, v9, 0x3574, v30
	;; [unrolled: 1-line block ×3, first 2 shown]
	v_lshlrev_b32_e32 v201, 2, v0
	v_sub_f16_e32 v0, v16, v10
	v_sub_f16_e32 v10, v14, v13
	v_mul_f16_e32 v3, 0x2b26, v15
	v_fmac_f16_e32 v1, 0xb574, v8
	v_fma_f16 v8, v2, 0x3b00, -v30
	v_mul_f16_e32 v2, 0xbb00, v2
	v_add_f16_e32 v31, v31, v7
	v_add_f16_e32 v53, v53, v18
	v_fmac_f16_e32 v54, 0x370e, v29
	v_fmac_f16_e32 v55, 0x370e, v20
	v_fma_f16 v3, v0, 0x39e0, -v3
	v_fma_f16 v0, v0, 0xb9e0, -v17
	v_fma_f16 v5, v10, 0x39e0, -v5
	v_fma_f16 v10, v10, 0xb9e0, -v19
	v_fmac_f16_e32 v2, 0xb574, v9
	v_add_f16_e32 v56, v54, v31
	v_sub_f16_e32 v57, v53, v55
	v_add_f16_e32 v3, v3, v7
	v_add_f16_e32 v0, v0, v7
	;; [unrolled: 1-line block ×3, first 2 shown]
	v_fmac_f16_e32 v1, 0x370e, v20
	v_fmac_f16_e32 v2, 0x370e, v29
	v_pack_b32_f16 v56, v56, v57
	v_add_f16_e32 v5, v5, v18
	v_fmac_f16_e32 v11, 0x370e, v20
	v_fmac_f16_e32 v8, 0x370e, v29
	v_add_f16_e32 v9, v2, v0
	v_sub_f16_e32 v10, v7, v1
	ds_store_2addr_b32 v201, v12, v56 offset1:28
	v_add_f16_e32 v12, v11, v5
	v_sub_f16_e32 v5, v5, v11
	v_sub_f16_e32 v0, v0, v2
	v_pack_b32_f16 v9, v9, v10
	v_sub_f16_e32 v10, v3, v8
	v_add_f16_e32 v3, v8, v3
	v_add_f16_e32 v1, v1, v7
	s_delay_alu instid0(VALU_DEP_3) | instskip(NEXT) | instid1(VALU_DEP_3)
	v_pack_b32_f16 v10, v10, v12
	v_pack_b32_f16 v2, v3, v5
	s_delay_alu instid0(VALU_DEP_3)
	v_pack_b32_f16 v0, v0, v1
	v_add_f16_e32 v1, v55, v53
	ds_store_2addr_b32 v201, v9, v10 offset0:56 offset1:84
	v_mad_co_u64_u32 v[9:10], null, v156, 12, s[6:7]
	ds_store_2addr_b32 v201, v2, v0 offset0:112 offset1:140
	v_lshrrev_b16 v2, 2, v26
	v_sub_f16_e32 v0, v31, v54
	s_delay_alu instid0(VALU_DEP_2) | instskip(NEXT) | instid1(VALU_DEP_2)
	v_and_b32_e32 v2, 0xffff, v2
	v_pack_b32_f16 v0, v0, v1
	v_mul_u32_u24_e32 v1, 0xa73, v4
	s_delay_alu instid0(VALU_DEP_3)
	v_mul_u32_u24_e32 v2, 0xa73, v2
	ds_store_b32 v201, v0 offset:672
	v_mul_u32_u24_e32 v0, 0xa73, v6
	global_wb scope:SCOPE_SE
	s_wait_dscnt 0x0
	s_barrier_signal -1
	v_lshrrev_b32_e32 v2, 17, v2
	s_barrier_wait -1
	v_lshrrev_b32_e32 v0, 17, v0
	global_inv scope:SCOPE_SE
	v_lshrrev_b32_e32 v1, 17, v1
	v_mul_lo_u16 v2, 0xc4, v2
	v_mul_lo_u16 v0, 0xc4, v0
	s_delay_alu instid0(VALU_DEP_3) | instskip(NEXT) | instid1(VALU_DEP_3)
	v_mul_lo_u16 v1, 0xc4, v1
	v_sub_nc_u16 v6, v26, v2
	v_lshrrev_b16 v2, 2, v27
	s_delay_alu instid0(VALU_DEP_4) | instskip(NEXT) | instid1(VALU_DEP_4)
	v_sub_nc_u16 v0, v24, v0
	v_sub_nc_u16 v1, v25, v1
	s_delay_alu instid0(VALU_DEP_3) | instskip(NEXT) | instid1(VALU_DEP_1)
	v_and_b32_e32 v2, 0xffff, v2
	v_mul_u32_u24_e32 v2, 0xa73, v2
	s_delay_alu instid0(VALU_DEP_1) | instskip(NEXT) | instid1(VALU_DEP_1)
	v_lshrrev_b32_e32 v2, 17, v2
	v_mul_lo_u16 v2, 0xc4, v2
	s_delay_alu instid0(VALU_DEP_1) | instskip(SKIP_1) | instid1(VALU_DEP_1)
	v_sub_nc_u16 v5, v27, v2
	v_lshrrev_b16 v2, 2, v28
	v_and_b32_e32 v2, 0xffff, v2
	s_delay_alu instid0(VALU_DEP_1) | instskip(NEXT) | instid1(VALU_DEP_1)
	v_mul_u32_u24_e32 v2, 0xa73, v2
	v_lshrrev_b32_e32 v2, 17, v2
	s_delay_alu instid0(VALU_DEP_1) | instskip(NEXT) | instid1(VALU_DEP_1)
	v_mul_lo_u16 v2, 0xc4, v2
	v_sub_nc_u16 v4, v28, v2
	v_mul_lo_u16 v2, v0, 12
	v_and_b32_e32 v0, 0xffff, v0
	s_delay_alu instid0(VALU_DEP_2) | instskip(NEXT) | instid1(VALU_DEP_2)
	v_and_b32_e32 v2, 0xffff, v2
	v_lshlrev_b32_e32 v0, 2, v0
	s_delay_alu instid0(VALU_DEP_2)
	v_add_co_u32 v7, s2, s6, v2
	s_wait_alu 0xf1ff
	v_add_co_ci_u32_e64 v8, null, s7, 0, s2
	s_clause 0x1
	global_load_b96 v[53:55], v[9:10], off offset:756
	global_load_b96 v[62:64], v[7:8], off offset:756
	ds_load_2addr_b32 v[7:8], v128 offset0:24 offset1:220
	ds_load_2addr_b32 v[9:10], v138 offset0:56 offset1:252
	;; [unrolled: 1-line block ×3, first 2 shown]
	s_wait_dscnt 0x2
	v_lshrrev_b32_e32 v2, 16, v8
	s_wait_dscnt 0x1
	v_lshrrev_b32_e32 v11, 16, v9
	;; [unrolled: 2-line block ×3, first 2 shown]
	s_wait_loadcnt 0x1
	v_lshrrev_b32_e32 v225, 16, v53
	v_lshrrev_b32_e32 v227, 16, v54
	;; [unrolled: 1-line block ×3, first 2 shown]
	s_wait_loadcnt 0x0
	v_lshrrev_b32_e32 v239, 16, v62
	v_lshrrev_b32_e32 v238, 16, v64
	v_mul_f16_e64 v3, v8, v225
	v_mul_f16_e64 v12, v9, v227
	v_mul_f16_e64 v14, v25, v226
	v_lshrrev_b32_e32 v240, 16, v63
	s_delay_alu instid0(VALU_DEP_4)
	v_fmac_f16_e32 v3, v2, v53
	v_mul_f16_e64 v2, v2, v225
	v_fmac_f16_e32 v12, v11, v54
	v_mul_f16_e64 v11, v11, v227
	;; [unrolled: 2-line block ×3, first 2 shown]
	v_fma_f16 v2, v8, v53, -v2
	s_delay_alu instid0(VALU_DEP_4) | instskip(SKIP_3) | instid1(VALU_DEP_2)
	v_fma_f16 v11, v9, v54, -v11
	ds_load_2addr_b32 v[8:9], v154 offset1:196
	v_fma_f16 v13, v25, v55, -v13
	v_sub_f16_e32 v14, v3, v14
	v_sub_f16_e32 v13, v2, v13
	s_delay_alu instid0(VALU_DEP_2) | instskip(NEXT) | instid1(VALU_DEP_2)
	v_fma_f16 v3, v3, 2.0, -v14
	v_fma_f16 v2, v2, 2.0, -v13
	s_wait_dscnt 0x0
	v_lshrrev_b32_e32 v15, 16, v8
	v_sub_f16_e32 v11, v8, v11
	s_delay_alu instid0(VALU_DEP_2) | instskip(NEXT) | instid1(VALU_DEP_2)
	v_sub_f16_e32 v12, v15, v12
	v_fma_f16 v8, v8, 2.0, -v11
	v_sub_f16_e32 v14, v11, v14
	s_delay_alu instid0(VALU_DEP_3) | instskip(SKIP_1) | instid1(VALU_DEP_4)
	v_fma_f16 v15, v15, 2.0, -v12
	v_add_f16_e32 v13, v12, v13
	v_sub_f16_e32 v2, v8, v2
	s_delay_alu instid0(VALU_DEP_4) | instskip(NEXT) | instid1(VALU_DEP_4)
	v_fma_f16 v11, v11, 2.0, -v14
	v_sub_f16_e32 v3, v15, v3
	s_delay_alu instid0(VALU_DEP_4) | instskip(NEXT) | instid1(VALU_DEP_4)
	v_fma_f16 v12, v12, 2.0, -v13
	v_fma_f16 v8, v8, 2.0, -v2
	s_delay_alu instid0(VALU_DEP_3) | instskip(NEXT) | instid1(VALU_DEP_3)
	v_fma_f16 v15, v15, 2.0, -v3
	v_pack_b32_f16 v11, v11, v12
	v_mul_lo_u16 v12, v1, 12
	v_pack_b32_f16 v2, v2, v3
	v_pack_b32_f16 v3, v14, v13
	;; [unrolled: 1-line block ×3, first 2 shown]
	v_mul_lo_u16 v15, v6, 12
	v_and_b32_e32 v12, 0xffff, v12
	v_and_b32_e32 v1, 0xffff, v1
	s_delay_alu instid0(VALU_DEP_3) | instskip(NEXT) | instid1(VALU_DEP_3)
	v_and_b32_e32 v15, 0xffff, v15
	v_add_co_u32 v25, s2, s6, v12
	v_mul_lo_u16 v12, v5, 12
	s_wait_alu 0xf1ff
	v_add_co_ci_u32_e64 v26, null, s7, 0, s2
	v_add_co_u32 v27, s2, s6, v15
	v_mul_lo_u16 v15, v4, 12
	v_and_b32_e32 v12, 0xffff, v12
	s_wait_alu 0xf1ff
	v_add_co_ci_u32_e64 v28, null, s7, 0, s2
	v_lshlrev_b32_e32 v1, 2, v1
	v_and_b32_e32 v15, 0xffff, v15
	v_add_co_u32 v29, s2, s6, v12
	s_wait_alu 0xf1ff
	v_add_co_ci_u32_e64 v30, null, s7, 0, s2
	s_delay_alu instid0(VALU_DEP_3)
	v_add_co_u32 v56, s2, s6, v15
	s_wait_alu 0xf1ff
	v_add_co_ci_u32_e64 v57, null, s7, 0, s2
	s_clause 0x3
	global_load_b96 v[68:70], v[25:26], off offset:756
	global_load_b96 v[65:67], v[27:28], off offset:756
	;; [unrolled: 1-line block ×4, first 2 shown]
	ds_load_2addr_b32 v[25:26], v161 offset0:32 offset1:228
	ds_load_2addr_b32 v[27:28], v194 offset0:24 offset1:220
	;; [unrolled: 1-line block ×3, first 2 shown]
	ds_load_2addr_b32 v[74:75], v158 offset1:196
	ds_load_2addr_b32 v[76:77], v127 offset0:40 offset1:236
	ds_load_2addr_b32 v[84:85], v150 offset0:32 offset1:228
	;; [unrolled: 1-line block ×6, first 2 shown]
	global_wb scope:SCOPE_SE
	s_wait_loadcnt_dscnt 0x0
	s_barrier_signal -1
	s_barrier_wait -1
	global_inv scope:SCOPE_SE
	ds_store_2addr_b32 v154, v8, v11 offset1:196
	ds_store_2addr_b32 v124, v2, v3 offset0:8 offset1:204
	v_lshrrev_b32_e32 v2, 16, v10
	v_mul_f16_e64 v8, v10, v227
	v_and_b32_e32 v4, 0xffff, v4
	s_add_nc_u64 s[2:3], s[4:5], 0x55c0
	v_mul_f16_e64 v11, v25, v225
	v_mul_f16_e64 v3, v2, v227
	v_lshrrev_b32_e32 v12, 16, v27
	v_mul_f16_e64 v13, v27, v226
	v_fmac_f16_e32 v8, v2, v54
	v_lshlrev_b32_e32 v4, 2, v4
	v_fma_f16 v3, v10, v54, -v3
	v_lshrrev_b32_e32 v10, 16, v25
	v_fmac_f16_e32 v13, v12, v55
	v_mul_f16_e64 v12, v12, v226
	s_delay_alu instid0(VALU_DEP_4) | instskip(NEXT) | instid1(VALU_DEP_4)
	v_sub_f16_e32 v2, v9, v3
	v_fmac_f16_e32 v11, v10, v53
	v_mul_f16_e64 v10, v10, v225
	v_lshrrev_b32_e32 v3, 16, v9
	v_fma_f16 v12, v27, v55, -v12
	v_fma_f16 v9, v9, 2.0, -v2
	v_sub_f16_e32 v13, v11, v13
	v_fma_f16 v10, v25, v53, -v10
	v_sub_f16_e32 v8, v3, v8
	s_delay_alu instid0(VALU_DEP_3) | instskip(NEXT) | instid1(VALU_DEP_3)
	v_fma_f16 v11, v11, 2.0, -v13
	v_sub_f16_e32 v12, v10, v12
	s_delay_alu instid0(VALU_DEP_3) | instskip(NEXT) | instid1(VALU_DEP_2)
	v_fma_f16 v3, v3, 2.0, -v8
	v_fma_f16 v10, v10, 2.0, -v12
	s_delay_alu instid0(VALU_DEP_2) | instskip(SKIP_1) | instid1(VALU_DEP_3)
	v_sub_f16_e32 v11, v3, v11
	v_add_f16_e32 v12, v8, v12
	v_sub_f16_e32 v10, v9, v10
	s_delay_alu instid0(VALU_DEP_3) | instskip(NEXT) | instid1(VALU_DEP_3)
	v_fma_f16 v3, v3, 2.0, -v11
	v_fma_f16 v8, v8, 2.0, -v12
	s_delay_alu instid0(VALU_DEP_3) | instskip(NEXT) | instid1(VALU_DEP_1)
	v_fma_f16 v9, v9, 2.0, -v10
	v_pack_b32_f16 v3, v9, v3
	v_sub_f16_e32 v9, v2, v13
	s_delay_alu instid0(VALU_DEP_1) | instskip(NEXT) | instid1(VALU_DEP_1)
	v_fma_f16 v2, v2, 2.0, -v9
	v_pack_b32_f16 v2, v2, v8
	v_mul_f16_e64 v8, v26, v239
	ds_store_2addr_b32 v162, v3, v2 offset0:16 offset1:212
	v_pack_b32_f16 v2, v10, v11
	v_pack_b32_f16 v3, v9, v12
	v_lshrrev_b32_e32 v9, 16, v28
	v_mul_f16_e64 v11, v28, v238
	v_lshrrev_b32_e32 v12, 16, v29
	ds_store_2addr_b32 v128, v2, v3 offset0:24 offset1:220
	v_lshrrev_b32_e32 v2, 16, v26
	v_mul_f16_e64 v10, v9, v238
	v_fmac_f16_e32 v11, v9, v64
	v_mul_f16_e64 v9, v74, v240
	s_delay_alu instid0(VALU_DEP_4) | instskip(SKIP_3) | instid1(VALU_DEP_4)
	v_mul_f16_e64 v3, v2, v239
	v_fmac_f16_e32 v8, v2, v62
	v_lshrrev_b32_e32 v2, 16, v74
	v_fma_f16 v10, v28, v64, -v10
	v_fma_f16 v3, v26, v62, -v3
	s_delay_alu instid0(VALU_DEP_4) | instskip(NEXT) | instid1(VALU_DEP_4)
	v_sub_f16_e32 v11, v8, v11
	v_fmac_f16_e32 v9, v2, v63
	v_mul_f16_e64 v2, v2, v240
	s_delay_alu instid0(VALU_DEP_4) | instskip(NEXT) | instid1(VALU_DEP_4)
	v_sub_f16_e32 v10, v3, v10
	v_fma_f16 v8, v8, 2.0, -v11
	s_delay_alu instid0(VALU_DEP_4) | instskip(NEXT) | instid1(VALU_DEP_4)
	v_sub_f16_e32 v9, v12, v9
	v_fma_f16 v2, v74, v63, -v2
	s_delay_alu instid0(VALU_DEP_4) | instskip(NEXT) | instid1(VALU_DEP_3)
	v_fma_f16 v3, v3, 2.0, -v10
	v_fma_f16 v12, v12, 2.0, -v9
	s_delay_alu instid0(VALU_DEP_3) | instskip(SKIP_1) | instid1(VALU_DEP_3)
	v_sub_f16_e32 v2, v29, v2
	v_add_f16_e32 v10, v9, v10
	v_sub_f16_e32 v8, v12, v8
	s_delay_alu instid0(VALU_DEP_3) | instskip(SKIP_1) | instid1(VALU_DEP_4)
	v_fma_f16 v13, v29, 2.0, -v2
	v_sub_f16_e32 v11, v2, v11
	v_fma_f16 v9, v9, 2.0, -v10
	v_mad_co_u64_u32 v[28:29], null, v156, 24, s[6:7]
	s_delay_alu instid0(VALU_DEP_4) | instskip(SKIP_3) | instid1(VALU_DEP_3)
	v_sub_f16_e32 v3, v13, v3
	v_fma_f16 v12, v12, 2.0, -v8
	v_fma_f16 v2, v2, 2.0, -v11
	s_mul_u64 s[6:7], s[8:9], 0xc40
	v_fma_f16 v13, v13, 2.0, -v3
	s_delay_alu instid0(VALU_DEP_2) | instskip(SKIP_2) | instid1(VALU_DEP_4)
	v_pack_b32_f16 v2, v2, v9
	v_add_nc_u32_e32 v9, 0x1800, v0
	v_add_nc_u32_e32 v0, 0x1e00, v0
	v_pack_b32_f16 v12, v13, v12
	s_clause 0x1
	scratch_store_b32 off, v9, off offset:188
	scratch_store_b32 off, v0, off offset:160
	ds_store_2addr_b32 v9, v12, v2 offset0:32 offset1:228
	v_pack_b32_f16 v2, v3, v8
	v_pack_b32_f16 v3, v11, v10
	v_lshrrev_b32_e32 v9, 16, v76
	v_lshrrev_b32_e32 v11, 16, v84
	ds_store_2addr_b32 v0, v2, v3 offset0:40 offset1:236
	v_lshrrev_b32_e32 v0, 16, v75
	v_lshrrev_b32_e32 v246, 16, v69
	;; [unrolled: 1-line block ×6, first 2 shown]
	v_mul_f16_e64 v2, v0, v246
	v_mul_f16_e64 v10, v76, v248
	;; [unrolled: 1-line block ×4, first 2 shown]
	v_lshrrev_b32_e32 v251, 16, v66
	v_fma_f16 v2, v75, v69, -v2
	v_fmac_f16_e32 v10, v9, v68
	v_mul_f16_e64 v9, v9, v248
	v_fmac_f16_e32 v12, v11, v70
	v_mul_f16_e64 v11, v11, v247
	v_fmac_f16_e32 v3, v0, v69
	v_sub_f16_e32 v0, v30, v2
	v_lshrrev_b32_e32 v2, 16, v30
	v_fma_f16 v9, v76, v68, -v9
	v_fma_f16 v11, v84, v70, -v11
	v_sub_f16_e32 v12, v10, v12
	v_fma_f16 v8, v30, 2.0, -v0
	v_sub_f16_e32 v3, v2, v3
	v_lshrrev_b32_e32 v253, 16, v60
	v_sub_f16_e32 v11, v9, v11
	v_fma_f16 v10, v10, 2.0, -v12
	v_lshrrev_b32_e32 v255, 16, v59
	v_fma_f16 v2, v2, 2.0, -v3
	v_lshrrev_b32_e32 v254, 16, v61
	v_fma_f16 v9, v9, 2.0, -v11
	v_add_f16_e32 v11, v3, v11
	v_lshrrev_b32_e32 v71, 16, v57
	v_sub_f16_e32 v10, v2, v10
	v_lshrrev_b32_e32 v98, 16, v56
	v_sub_f16_e32 v9, v8, v9
	v_fma_f16 v3, v3, 2.0, -v11
	s_delay_alu instid0(VALU_DEP_4) | instskip(NEXT) | instid1(VALU_DEP_3)
	v_fma_f16 v2, v2, 2.0, -v10
	v_fma_f16 v8, v8, 2.0, -v9
	s_delay_alu instid0(VALU_DEP_1) | instskip(SKIP_1) | instid1(VALU_DEP_1)
	v_pack_b32_f16 v2, v8, v2
	v_sub_f16_e32 v8, v0, v12
	v_fma_f16 v0, v0, 2.0, -v8
	s_delay_alu instid0(VALU_DEP_1)
	v_pack_b32_f16 v0, v0, v3
	v_add_nc_u32_e32 v3, 0x2400, v1
	v_add_nc_u32_e32 v1, 0x2a00, v1
	ds_store_2addr_b32 v3, v2, v0 offset0:48 offset1:244
	v_pack_b32_f16 v0, v9, v10
	v_pack_b32_f16 v2, v8, v11
	s_clause 0x1
	scratch_store_b32 off, v3, off offset:164
	scratch_store_b32 off, v1, off offset:168
	v_lshrrev_b32_e32 v3, 16, v85
	v_mul_f16_e64 v9, v85, v250
	ds_store_2addr_b32 v1, v0, v2 offset0:56 offset1:252
	v_lshrrev_b32_e32 v0, 16, v77
	v_mul_f16_e64 v2, v77, v252
	v_mul_f16_e64 v8, v3, v250
	v_fmac_f16_e32 v9, v3, v67
	v_mul_f16_e64 v3, v88, v251
	v_mul_f16_e64 v1, v0, v252
	v_fmac_f16_e32 v2, v0, v65
	v_lshrrev_b32_e32 v0, 16, v88
	v_fma_f16 v8, v85, v67, -v8
	v_lshrrev_b32_e32 v10, 16, v86
	v_fma_f16 v1, v77, v65, -v1
	v_sub_f16_e32 v9, v2, v9
	v_fmac_f16_e32 v3, v0, v66
	v_mul_f16_e64 v0, v0, v251
	s_delay_alu instid0(VALU_DEP_4) | instskip(NEXT) | instid1(VALU_DEP_4)
	v_sub_f16_e32 v8, v1, v8
	v_fma_f16 v2, v2, 2.0, -v9
	s_delay_alu instid0(VALU_DEP_4) | instskip(NEXT) | instid1(VALU_DEP_4)
	v_sub_f16_e32 v3, v10, v3
	v_fma_f16 v0, v88, v66, -v0
	s_delay_alu instid0(VALU_DEP_4) | instskip(NEXT) | instid1(VALU_DEP_3)
	v_fma_f16 v1, v1, 2.0, -v8
	v_add_f16_e32 v8, v3, v8
	s_delay_alu instid0(VALU_DEP_3) | instskip(SKIP_1) | instid1(VALU_DEP_3)
	v_sub_f16_e32 v0, v86, v0
	v_fma_f16 v10, v10, 2.0, -v3
	v_fma_f16 v3, v3, 2.0, -v8
	s_delay_alu instid0(VALU_DEP_3) | instskip(SKIP_1) | instid1(VALU_DEP_4)
	v_sub_f16_e32 v9, v0, v9
	v_fma_f16 v11, v86, 2.0, -v0
	v_sub_f16_e32 v2, v10, v2
	s_delay_alu instid0(VALU_DEP_3) | instskip(NEXT) | instid1(VALU_DEP_3)
	v_fma_f16 v0, v0, 2.0, -v9
	v_sub_f16_e32 v1, v11, v1
	s_delay_alu instid0(VALU_DEP_3) | instskip(NEXT) | instid1(VALU_DEP_3)
	v_fma_f16 v10, v10, 2.0, -v2
	v_pack_b32_f16 v0, v0, v3
	v_and_b32_e32 v3, 0xffff, v6
	s_delay_alu instid0(VALU_DEP_4) | instskip(NEXT) | instid1(VALU_DEP_2)
	v_fma_f16 v11, v11, 2.0, -v1
	v_lshlrev_b32_e32 v3, 2, v3
	s_delay_alu instid0(VALU_DEP_2) | instskip(NEXT) | instid1(VALU_DEP_2)
	v_pack_b32_f16 v10, v11, v10
	v_add_nc_u32_e32 v6, 0x3100, v3
	ds_store_2addr_b32 v6, v10, v0 offset1:196
	v_pack_b32_f16 v0, v1, v2
	v_pack_b32_f16 v1, v9, v8
	v_add_nc_u32_e32 v2, 0x3700, v3
	scratch_store_b32 off, v6, off offset:176 ; 4-byte Folded Spill
	v_lshrrev_b32_e32 v6, 16, v90
	v_mul_f16_e64 v8, v90, v255
	v_lshrrev_b32_e32 v9, 16, v94
	scratch_store_b32 off, v2, off offset:172 ; 4-byte Folded Spill
	ds_store_2addr_b32 v2, v0, v1 offset0:8 offset1:204
	v_lshrrev_b32_e32 v0, 16, v89
	v_mul_f16_e64 v10, v94, v254
	v_mul_f16_e64 v2, v89, v253
	v_fmac_f16_e32 v8, v6, v59
	v_mul_f16_e64 v6, v6, v255
	v_mul_f16_e64 v1, v0, v253
	v_fmac_f16_e32 v10, v9, v61
	v_mul_f16_e64 v9, v9, v254
	v_fmac_f16_e32 v2, v0, v60
	v_fma_f16 v6, v90, v59, -v6
	v_fma_f16 v1, v89, v60, -v1
	v_sub_f16_e32 v10, v8, v10
	v_fma_f16 v9, v94, v61, -v9
	v_lshrrev_b32_e32 v94, 16, v58
	s_delay_alu instid0(VALU_DEP_4) | instskip(SKIP_1) | instid1(VALU_DEP_4)
	v_sub_f16_e32 v0, v87, v1
	v_lshrrev_b32_e32 v1, 16, v87
	v_sub_f16_e32 v9, v6, v9
	v_fma_f16 v8, v8, 2.0, -v10
	s_delay_alu instid0(VALU_DEP_4) | instskip(NEXT) | instid1(VALU_DEP_4)
	v_fma_f16 v3, v87, 2.0, -v0
	v_sub_f16_e32 v2, v1, v2
	s_delay_alu instid0(VALU_DEP_4) | instskip(NEXT) | instid1(VALU_DEP_2)
	v_fma_f16 v6, v6, 2.0, -v9
	v_fma_f16 v1, v1, 2.0, -v2
	s_delay_alu instid0(VALU_DEP_2) | instskip(SKIP_1) | instid1(VALU_DEP_3)
	v_sub_f16_e32 v6, v3, v6
	v_add_f16_e32 v9, v2, v9
	v_sub_f16_e32 v8, v1, v8
	s_delay_alu instid0(VALU_DEP_3) | instskip(NEXT) | instid1(VALU_DEP_3)
	v_fma_f16 v3, v3, 2.0, -v6
	v_fma_f16 v2, v2, 2.0, -v9
	s_delay_alu instid0(VALU_DEP_3) | instskip(NEXT) | instid1(VALU_DEP_1)
	v_fma_f16 v1, v1, 2.0, -v8
	v_pack_b32_f16 v1, v3, v1
	v_sub_f16_e32 v3, v0, v10
	v_mul_f16_e32 v10, v95, v94
	s_delay_alu instid0(VALU_DEP_2) | instskip(NEXT) | instid1(VALU_DEP_1)
	v_fma_f16 v0, v0, 2.0, -v3
	v_pack_b32_f16 v0, v0, v2
	v_and_b32_e32 v2, 0xffff, v5
	s_delay_alu instid0(VALU_DEP_1) | instskip(NEXT) | instid1(VALU_DEP_1)
	v_lshlrev_b32_e32 v2, 2, v2
	v_add_nc_u32_e32 v5, 0x3d00, v2
	v_add_nc_u32_e32 v2, 0x4300, v2
	ds_store_2addr_b32 v5, v1, v0 offset0:16 offset1:212
	v_pack_b32_f16 v0, v6, v8
	v_pack_b32_f16 v1, v3, v9
	v_lshrrev_b32_e32 v3, 16, v24
	s_clause 0x1
	scratch_store_b32 off, v5, off offset:180
	scratch_store_b32 off, v2, off offset:184
	v_lshrrev_b32_e32 v8, 16, v95
	ds_store_2addr_b32 v2, v0, v1 offset0:24 offset1:220
	v_lshrrev_b32_e32 v0, 16, v91
	v_mul_f16_e32 v5, v3, v71
	v_mul_f16_e32 v2, v91, v98
	;; [unrolled: 1-line block ×5, first 2 shown]
	v_fma_f16 v5, v24, v57, -v5
	v_fmac_f16_e32 v2, v0, v56
	v_fmac_f16_e32 v6, v3, v57
	v_fma_f16 v9, v95, v58, -v9
	v_fma_f16 v1, v91, v56, -v1
	v_fmac_f16_e32 v10, v8, v58
	v_sub_f16_e32 v0, v7, v5
	v_lshrrev_b32_e32 v3, 16, v7
	s_delay_alu instid0(VALU_DEP_3) | instskip(NEXT) | instid1(VALU_DEP_3)
	v_sub_f16_e32 v8, v2, v10
	v_fma_f16 v5, v7, 2.0, -v0
	s_delay_alu instid0(VALU_DEP_3) | instskip(SKIP_1) | instid1(VALU_DEP_4)
	v_sub_f16_e32 v6, v3, v6
	v_sub_f16_e32 v7, v1, v9
	v_fma_f16 v2, v2, 2.0, -v8
	s_delay_alu instid0(VALU_DEP_3) | instskip(NEXT) | instid1(VALU_DEP_3)
	v_fma_f16 v3, v3, 2.0, -v6
	v_fma_f16 v1, v1, 2.0, -v7
	v_add_f16_e32 v7, v6, v7
	s_delay_alu instid0(VALU_DEP_3) | instskip(NEXT) | instid1(VALU_DEP_3)
	v_sub_f16_e32 v2, v3, v2
	v_sub_f16_e32 v1, v5, v1
	s_delay_alu instid0(VALU_DEP_3) | instskip(NEXT) | instid1(VALU_DEP_3)
	v_fma_f16 v6, v6, 2.0, -v7
	v_fma_f16 v3, v3, 2.0, -v2
	s_delay_alu instid0(VALU_DEP_3) | instskip(NEXT) | instid1(VALU_DEP_1)
	v_fma_f16 v5, v5, 2.0, -v1
	v_pack_b32_f16 v3, v5, v3
	v_sub_f16_e32 v5, v0, v8
	s_delay_alu instid0(VALU_DEP_1) | instskip(NEXT) | instid1(VALU_DEP_1)
	v_fma_f16 v0, v0, 2.0, -v5
	v_pack_b32_f16 v0, v0, v6
	v_add_nc_u32_e32 v6, 0x4900, v4
	ds_store_2addr_b32 v6, v3, v0 offset0:32 offset1:228
	v_pack_b32_f16 v0, v1, v2
	v_pack_b32_f16 v1, v5, v7
	v_add_nc_u32_e32 v2, 0x4f00, v4
	s_clause 0x1
	scratch_store_b32 off, v6, off offset:192
	scratch_store_b32 off, v2, off offset:196
	ds_store_2addr_b32 v2, v0, v1 offset0:40 offset1:236
	global_wb scope:SCOPE_SE
	s_wait_storecnt_dscnt 0x0
	s_barrier_signal -1
	s_barrier_wait -1
	global_inv scope:SCOPE_SE
	ds_load_2addr_b32 v[25:26], v162 offset0:16 offset1:212
	s_clause 0x3
	global_load_b64 v[74:75], v[28:29], off offset:3124
	global_load_b128 v[232:235], v[28:29], off offset:3108
	global_load_b64 v[76:77], v[28:29], off offset:7828
	global_load_b128 v[228:231], v[28:29], off offset:7812
	ds_load_2addr_b32 v[30:31], v160 offset0:48 offset1:244
	ds_load_2addr_b32 v[84:85], v158 offset1:196
	ds_load_2addr_b32 v[86:87], v155 offset0:16 offset1:212
	ds_load_2addr_b32 v[88:89], v150 offset0:32 offset1:228
	s_wait_dscnt 0x4
	v_lshrrev_b32_e32 v0, 16, v25
	v_lshrrev_b32_e32 v2, 16, v26
	s_wait_dscnt 0x3
	v_lshrrev_b32_e32 v7, 16, v31
	s_wait_dscnt 0x2
	;; [unrolled: 2-line block ×4, first 2 shown]
	v_lshrrev_b32_e32 v16, 16, v89
	s_wait_loadcnt 0x3
	v_lshrrev_b32_e32 v213, 16, v74
	s_wait_loadcnt 0x2
	;; [unrolled: 2-line block ×3, first 2 shown]
	v_lshrrev_b32_e32 v118, 16, v228
	v_lshrrev_b32_e32 v101, 16, v233
	;; [unrolled: 1-line block ×4, first 2 shown]
	v_mul_f16_e32 v1, v0, v108
	v_mul_f16_e32 v3, v2, v118
	v_lshrrev_b32_e32 v104, 16, v230
	v_lshrrev_b32_e32 v100, 16, v235
	v_mul_f16_e32 v6, v30, v107
	v_fma_f16 v1, v25, v232, -v1
	v_fma_f16 v24, v26, v228, -v3
	v_mul_f16_e32 v3, v25, v108
	v_mul_f16_e32 v25, v26, v118
	ds_load_2addr_b32 v[26:27], v161 offset0:32 offset1:228
	v_mul_f16_e32 v8, v7, v104
	v_mul_f16_e32 v9, v84, v100
	v_fmac_f16_e64 v3, v0, v232
	v_fmac_f16_e64 v25, v2, v228
	v_lshrrev_b32_e32 v102, 16, v231
	v_mul_f16_e64 v12, v86, v213
	v_lshrrev_b32_e32 v212, 16, v76
	v_lshrrev_b32_e32 v216, 16, v75
	;; [unrolled: 1-line block ×3, first 2 shown]
	v_mul_f16_e32 v11, v10, v102
	s_delay_alu instid0(VALU_DEP_4) | instskip(NEXT) | instid1(VALU_DEP_4)
	v_mul_f16_e64 v14, v13, v212
	v_mul_f16_e64 v15, v88, v216
	s_delay_alu instid0(VALU_DEP_4) | instskip(SKIP_1) | instid1(VALU_DEP_2)
	v_mul_f16_e64 v17, v16, v214
	v_mul_f16_e64 v18, v89, v214
	v_fma_f16 v17, v89, v77, -v17
	s_wait_dscnt 0x0
	v_lshrrev_b32_e32 v0, 16, v26
	v_mul_f16_e32 v2, v26, v101
	v_lshrrev_b32_e32 v4, 16, v27
	v_fmac_f16_e32 v18, v16, v77
	s_delay_alu instid0(VALU_DEP_3) | instskip(SKIP_1) | instid1(VALU_DEP_4)
	v_fmac_f16_e64 v2, v0, v233
	v_mul_f16_e32 v0, v0, v101
	v_mul_f16_e32 v5, v4, v112
	s_delay_alu instid0(VALU_DEP_2) | instskip(NEXT) | instid1(VALU_DEP_2)
	v_fma_f16 v0, v26, v233, -v0
	v_fma_f16 v26, v27, v229, -v5
	v_lshrrev_b32_e32 v5, 16, v30
	v_mul_f16_e32 v27, v27, v112
	s_delay_alu instid0(VALU_DEP_2) | instskip(SKIP_1) | instid1(VALU_DEP_3)
	v_fmac_f16_e64 v6, v5, v234
	v_mul_f16_e32 v5, v5, v107
	v_fmac_f16_e64 v27, v4, v229
	s_delay_alu instid0(VALU_DEP_2) | instskip(SKIP_3) | instid1(VALU_DEP_2)
	v_fma_f16 v5, v30, v234, -v5
	v_fma_f16 v30, v31, v230, -v8
	v_lshrrev_b32_e32 v8, 16, v84
	v_mul_f16_e32 v31, v31, v104
	v_fmac_f16_e64 v9, v8, v235
	v_mul_f16_e32 v8, v8, v100
	s_delay_alu instid0(VALU_DEP_3) | instskip(NEXT) | instid1(VALU_DEP_2)
	v_fmac_f16_e64 v31, v7, v230
	v_fma_f16 v8, v84, v235, -v8
	v_fma_f16 v84, v85, v231, -v11
	v_lshrrev_b32_e32 v11, 16, v86
	v_mul_f16_e32 v85, v85, v102
	s_delay_alu instid0(VALU_DEP_2) | instskip(SKIP_1) | instid1(VALU_DEP_3)
	v_fmac_f16_e32 v12, v11, v74
	v_mul_f16_e64 v11, v11, v213
	v_fmac_f16_e64 v85, v10, v231
	s_delay_alu instid0(VALU_DEP_2) | instskip(SKIP_3) | instid1(VALU_DEP_4)
	v_fma_f16 v11, v86, v74, -v11
	v_fma_f16 v86, v87, v76, -v14
	v_lshrrev_b32_e32 v14, 16, v88
	v_mul_f16_e64 v87, v87, v212
	v_add_f16_e32 v10, v0, v11
	v_sub_f16_e32 v0, v0, v11
	s_delay_alu instid0(VALU_DEP_4)
	v_fmac_f16_e32 v15, v14, v75
	v_mul_f16_e64 v14, v14, v216
	v_add_f16_e32 v11, v2, v12
	v_sub_f16_e32 v2, v2, v12
	v_add_f16_e32 v12, v5, v8
	v_add_f16_e32 v7, v3, v15
	v_fma_f16 v14, v88, v75, -v14
	v_sub_f16_e32 v5, v8, v5
	v_add_f16_e32 v8, v6, v9
	v_sub_f16_e32 v6, v9, v6
	v_fmac_f16_e32 v87, v13, v76
	v_add_f16_e32 v4, v1, v14
	v_sub_f16_e32 v1, v1, v14
	v_sub_f16_e32 v14, v11, v7
	;; [unrolled: 1-line block ×4, first 2 shown]
	v_add_f16_e32 v9, v10, v4
	v_sub_f16_e32 v13, v10, v4
	v_sub_f16_e32 v4, v4, v12
	;; [unrolled: 1-line block ×4, first 2 shown]
	v_add_f16_e32 v9, v12, v9
	v_add_f16_e32 v12, v11, v7
	v_sub_f16_e32 v7, v7, v8
	v_sub_f16_e32 v11, v8, v11
	v_mul_f16_e32 v4, 0x3a52, v4
	ds_load_2addr_b32 v[88:89], v154 offset1:196
	v_add_f16_e32 v8, v8, v12
	v_add_f16_e32 v12, v5, v0
	v_sub_f16_e32 v5, v1, v5
	v_sub_f16_e32 v0, v0, v1
	v_mul_f16_e32 v7, 0x3a52, v7
	s_delay_alu instid0(VALU_DEP_4) | instskip(SKIP_3) | instid1(VALU_DEP_3)
	v_add_f16_e32 v1, v12, v1
	v_add_f16_e32 v12, v6, v2
	v_sub_f16_e32 v6, v3, v6
	v_sub_f16_e32 v2, v2, v3
	v_add_f16_e32 v3, v12, v3
	v_mul_f16_e32 v12, 0x2b26, v10
	v_fmamk_f16 v10, v10, 0x2b26, v4
	v_fma_f16 v4, v13, 0xb9e0, -v4
	s_delay_alu instid0(VALU_DEP_3)
	v_fma_f16 v12, v13, 0x39e0, -v12
	v_mul_f16_e32 v13, 0x2b26, v11
	v_fmamk_f16 v11, v11, 0x2b26, v7
	v_fma_f16 v7, v14, 0xb9e0, -v7
	s_wait_dscnt 0x0
	v_lshrrev_b32_e32 v20, 16, v89
	v_fma_f16 v13, v14, 0x39e0, -v13
	v_mul_f16_e32 v14, 0xb846, v15
	v_mul_f16_e32 v15, 0xbb00, v0
	s_delay_alu instid0(VALU_DEP_2) | instskip(SKIP_1) | instid1(VALU_DEP_3)
	v_fma_f16 v0, v0, 0x3b00, -v14
	v_fmamk_f16 v14, v5, 0x3574, v14
	v_fmac_f16_e32 v15, 0xb574, v5
	v_mul_f16_e32 v5, 0xb846, v16
	v_mul_f16_e32 v16, 0xbb00, v2
	v_fmac_f16_e32 v0, 0x370e, v1
	v_fmac_f16_e32 v14, 0x370e, v1
	;; [unrolled: 1-line block ×3, first 2 shown]
	v_fma_f16 v2, v2, 0x3b00, -v5
	v_fmamk_f16 v5, v6, 0x3574, v5
	v_fmac_f16_e32 v16, 0xb574, v6
	v_add_f16_e32 v6, v88, v9
	s_delay_alu instid0(VALU_DEP_4) | instskip(NEXT) | instid1(VALU_DEP_4)
	v_fmac_f16_e32 v2, 0x370e, v3
	v_fmac_f16_e32 v5, 0x370e, v3
	s_delay_alu instid0(VALU_DEP_4) | instskip(NEXT) | instid1(VALU_DEP_4)
	v_fmac_f16_e32 v16, 0x370e, v3
	v_fmamk_f16 v9, v9, 0xbcab, v6
	s_delay_alu instid0(VALU_DEP_1) | instskip(SKIP_3) | instid1(VALU_DEP_3)
	v_add_f16_e32 v10, v10, v9
	v_add_f16_e32 v12, v12, v9
	;; [unrolled: 1-line block ×3, first 2 shown]
	v_lshrrev_b32_e32 v9, 16, v88
	v_sub_f16_e32 v1, v12, v2
	v_add_f16_e32 v2, v2, v12
	s_delay_alu instid0(VALU_DEP_3) | instskip(NEXT) | instid1(VALU_DEP_1)
	v_add_f16_e32 v9, v9, v8
	v_fmamk_f16 v8, v8, 0xbcab, v9
	v_pack_b32_f16 v6, v6, v9
	s_delay_alu instid0(VALU_DEP_2)
	v_add_f16_e32 v11, v11, v8
	v_add_f16_e32 v13, v13, v8
	v_add_f16_e32 v7, v7, v8
	v_add_f16_e32 v8, v16, v4
	v_sub_f16_e32 v4, v4, v16
	v_add_f16_e32 v16, v30, v84
	v_add_f16_e32 v3, v0, v13
	v_sub_f16_e32 v0, v13, v0
	v_add_f16_e32 v13, v5, v10
	v_sub_f16_e32 v5, v10, v5
	v_sub_f16_e32 v10, v11, v14
	;; [unrolled: 1-line block ×3, first 2 shown]
	v_add_f16_e32 v7, v15, v7
	v_add_f16_e32 v11, v14, v11
	v_pack_b32_f16 v1, v1, v3
	v_pack_b32_f16 v9, v13, v10
	;; [unrolled: 1-line block ×5, first 2 shown]
	v_add_f16_e32 v14, v24, v17
	v_add_f16_e32 v15, v26, v86
	v_pack_b32_f16 v3, v5, v11
	ds_store_b32 v154, v9 offset:3136
	ds_store_b32 v154, v8 offset:6272
	;; [unrolled: 1-line block ×6, first 2 shown]
	v_add_f16_e32 v7, v25, v18
	v_add_f16_e32 v8, v27, v87
	;; [unrolled: 1-line block ×4, first 2 shown]
	v_sub_f16_e32 v13, v26, v86
	s_delay_alu instid0(VALU_DEP_4) | instskip(NEXT) | instid1(VALU_DEP_4)
	v_add_f16_e32 v0, v8, v7
	v_add_f16_e32 v19, v16, v19
	s_delay_alu instid0(VALU_DEP_2) | instskip(NEXT) | instid1(VALU_DEP_2)
	v_add_f16_e32 v10, v9, v0
	v_add_f16_e32 v21, v89, v19
	ds_load_2addr_b32 v[88:89], v124 offset0:8 offset1:204
	ds_load_2addr_b32 v[90:91], v128 offset0:24 offset1:220
	;; [unrolled: 1-line block ×7, first 2 shown]
	v_add_f16_e32 v11, v20, v10
	v_sub_f16_e32 v20, v85, v31
	v_fmamk_f16 v19, v19, 0xbcab, v21
	s_delay_alu instid0(VALU_DEP_3)
	v_pack_b32_f16 v12, v21, v11
	v_fmamk_f16 v10, v10, 0xbcab, v11
	ds_store_2addr_b32 v154, v6, v12 offset1:196
	v_sub_f16_e32 v6, v24, v17
	v_sub_f16_e32 v12, v25, v18
	;; [unrolled: 1-line block ×4, first 2 shown]
	s_clause 0x1
	global_load_b64 v[84:85], v[28:29], off offset:12532
	global_load_b128 v[24:27], v[28:29], off offset:12516
	s_wait_dscnt 0x6
	v_lshrrev_b32_e32 v11, 16, v90
	s_wait_dscnt 0x1
	v_lshrrev_b32_e32 v30, 16, v4
	v_lshrrev_b32_e32 v87, 16, v2
	;; [unrolled: 1-line block ×3, first 2 shown]
	v_sub_f16_e32 v125, v18, v13
	v_sub_f16_e32 v121, v20, v17
	v_add_f16_e32 v115, v18, v13
	v_sub_f16_e32 v18, v6, v18
	v_add_f16_e64 v129, v20, v17
	v_sub_f16_e32 v20, v12, v20
	v_mul_f16_e32 v125, 0xb846, v125
	v_mul_f16_e32 v121, 0xb846, v121
	v_add_f16_e32 v115, v115, v6
	v_add_f16_e64 v129, v129, v12
	v_sub_f16_e32 v6, v13, v6
	v_fmamk_f16 v122, v18, 0x3574, v125
	v_fma_f16 v179, 0x3574, v20, v121
	v_sub_f16_e32 v13, v15, v14
	v_lshrrev_b32_e32 v159, 16, v88
	s_delay_alu instid0(VALU_DEP_4) | instskip(NEXT) | instid1(VALU_DEP_4)
	v_fmac_f16_e32 v122, 0x370e, v115
	v_fmac_f16_e64 v179, 0x370e, v129
	s_wait_loadcnt 0x1
	v_lshrrev_b32_e32 v147, 16, v85
	s_wait_loadcnt 0x0
	v_lshrrev_b32_e32 v167, 16, v24
	v_lshrrev_b32_e32 v218, 16, v25
	;; [unrolled: 1-line block ×4, first 2 shown]
	v_mul_f16_e64 v31, v4, v147
	v_mul_f16_e64 v21, v90, v167
	;; [unrolled: 1-line block ×3, first 2 shown]
	s_delay_alu instid0(VALU_DEP_4) | instskip(NEXT) | instid1(VALU_DEP_4)
	v_mul_f16_e64 v223, v0, v217
	v_fmac_f16_e32 v31, v30, v85
	s_delay_alu instid0(VALU_DEP_4) | instskip(SKIP_4) | instid1(VALU_DEP_4)
	v_fmac_f16_e32 v21, v11, v24
	v_mul_f16_e64 v11, v11, v167
	v_mul_f16_e64 v30, v30, v147
	v_fmac_f16_e64 v223, v95, v27
	v_mul_f16_e64 v95, v95, v217
	v_fma_f16 v11, v90, v24, -v11
	s_delay_alu instid0(VALU_DEP_4) | instskip(SKIP_1) | instid1(VALU_DEP_4)
	v_fma_f16 v4, v4, v85, -v30
	v_mul_f16_e64 v90, v2, v166
	v_fma_f16 v0, v0, v27, -v95
	s_delay_alu instid0(VALU_DEP_3)
	v_add_f16_e32 v30, v11, v4
	v_sub_f16_e32 v4, v11, v4
	v_add_f16_e32 v11, v21, v31
	v_sub_f16_e32 v21, v21, v31
	v_lshrrev_b32_e32 v31, 16, v219
	v_fmac_f16_e32 v90, v87, v84
	v_mul_f16_e64 v87, v87, v166
	s_delay_alu instid0(VALU_DEP_3) | instskip(SKIP_1) | instid1(VALU_DEP_3)
	v_fmac_f16_e32 v86, v31, v25
	v_mul_f16_e64 v31, v31, v218
	v_fma_f16 v2, v2, v84, -v87
	s_delay_alu instid0(VALU_DEP_2) | instskip(SKIP_1) | instid1(VALU_DEP_2)
	v_fma_f16 v31, v219, v25, -v31
	v_lshrrev_b32_e32 v219, 16, v26
	v_add_f16_e32 v87, v31, v2
	v_sub_f16_e32 v2, v31, v2
	v_add_f16_e32 v31, v86, v90
	v_sub_f16_e32 v86, v86, v90
	v_lshrrev_b32_e32 v90, 16, v221
	v_mul_f16_e64 v92, v221, v219
	s_delay_alu instid0(VALU_DEP_4) | instskip(NEXT) | instid1(VALU_DEP_2)
	v_add_f16_e64 v168, v31, v11
	v_fmac_f16_e32 v92, v90, v26
	v_mul_f16_e64 v90, v90, v219
	s_delay_alu instid0(VALU_DEP_1)
	v_fma_f16 v90, v221, v26, -v90
	v_sub_f16_e64 v221, v14, v16
	v_sub_f16_e32 v16, v16, v15
	v_sub_f16_e32 v14, v87, v30
	;; [unrolled: 1-line block ×3, first 2 shown]
	v_add_f16_e32 v95, v90, v0
	v_sub_f16_e32 v0, v0, v90
	v_add_f16_e64 v90, v92, v223
	v_sub_f16_e64 v92, v223, v92
	v_sub_f16_e64 v223, v7, v9
	v_sub_f16_e32 v9, v9, v8
	v_mul_f16_e64 v221, 0x3a52, v221
	v_add_f16_e64 v186, v0, v2
	v_sub_f16_e32 v7, v8, v7
	v_mul_f16_e64 v223, 0x3a52, v223
	v_sub_f16_e32 v8, v17, v12
	v_fma_f16 v224, 0x2b26, v16, v221
	v_sub_f16_e64 v187, v0, v2
	v_sub_f16_e32 v0, v4, v0
	v_fma_f16 v215, 0x2b26, v9, v223
	v_add_f16_e64 v186, v186, v4
	v_add_f16_e64 v224, v224, v19
	v_mul_f16_e32 v12, 0xbb00, v6
	v_sub_f16_e32 v2, v2, v4
	v_add_f16_e64 v215, v215, v10
	v_mul_f16_e32 v4, 0xbb00, v8
	v_add_f16_e64 v132, v179, v224
	v_mul_f16_e32 v16, 0x2b26, v16
	v_mul_f16_e32 v9, 0x2b26, v9
	v_sub_f16_e64 v211, v215, v122
	v_sub_f16_e32 v119, v30, v95
	v_add_f16_e64 v168, v90, v168
	v_sub_f16_e64 v133, v11, v90
	v_sub_f16_e32 v90, v90, v31
	v_pack_b32_f16 v132, v132, v211
	v_add_f16_e64 v211, v87, v30
	v_sub_f16_e64 v134, v92, v86
	v_fmac_f16_e32 v12, 0xb574, v18
	v_fmac_f16_e32 v4, 0xb574, v20
	v_fma_f16 v18, v13, 0xb9e0, -v221
	v_add_f16_e64 v211, v95, v211
	v_sub_f16_e32 v95, v95, v87
	v_fma_f16 v20, v7, 0xb9e0, -v223
	v_fma_f16 v13, v13, 0x39e0, -v16
	v_fma_f16 v7, v7, 0x39e0, -v9
	v_add_f16_e64 v188, v92, v86
	v_add_f16_e64 v159, v159, v168
	v_mul_f16_e64 v133, 0x3a52, v133
	v_mul_f16_e64 v187, 0xb846, v187
	;; [unrolled: 1-line block ×3, first 2 shown]
	v_add_f16_e64 v88, v88, v211
	v_sub_f16_e32 v11, v31, v11
	v_add_f16_e32 v20, v20, v10
	v_add_f16_e32 v9, v13, v19
	;; [unrolled: 1-line block ×3, first 2 shown]
	v_mul_f16_e32 v10, 0x2b26, v95
	v_mul_f16_e32 v13, 0x2b26, v90
	v_add_f16_e64 v188, v188, v21
	v_fma_f16 v211, 0xbcab, v211, v88
	v_fma_f16 v168, 0xbcab, v168, v159
	v_mul_f16_e32 v17, 0xbb00, v2
	v_add_f16_e32 v18, v18, v19
	v_fmac_f16_e64 v4, 0x370e, v129
	v_fmac_f16_e32 v12, 0x370e, v115
	v_fma_f16 v31, v11, 0xb9e0, -v133
	v_fma_f16 v6, v6, 0x3b00, -v125
	;; [unrolled: 1-line block ×7, first 2 shown]
	v_sub_f16_e32 v92, v21, v92
	v_mul_f16_e32 v119, 0x3a52, v119
	v_fma_f16 v136, 0x3574, v0, v187
	v_fmac_f16_e32 v17, 0xb574, v0
	v_mul_f16_e32 v0, 0xbb00, v15
	v_add_f16_e32 v21, v4, v18
	v_sub_f16_e32 v30, v20, v12
	v_fmac_f16_e32 v6, 0x370e, v115
	v_fmac_f16_e64 v8, 0x370e, v129
	v_add_f16_e64 v10, v10, v211
	v_add_f16_e64 v11, v11, v168
	v_fmac_f16_e64 v2, 0x370e, v186
	v_fmac_f16_e64 v13, 0x370e, v188
	v_fmac_f16_e32 v0, 0xb574, v92
	v_pack_b32_f16 v21, v21, v30
	v_fma_f16 v30, v14, 0xb9e0, -v119
	v_sub_f16_e32 v14, v9, v8
	v_add_f16_e32 v15, v6, v7
	v_add_f16_e32 v16, v2, v11
	;; [unrolled: 1-line block ×3, first 2 shown]
	v_sub_f16_e32 v6, v7, v6
	v_add_f16_e32 v7, v13, v10
	v_sub_f16_e32 v2, v11, v2
	v_fmac_f16_e64 v136, 0x370e, v186
	v_add_f16_e64 v30, v30, v211
	v_add_f16_e64 v31, v31, v168
	v_fmac_f16_e64 v0, 0x370e, v188
	v_fmac_f16_e64 v17, 0x370e, v186
	v_pack_b32_f16 v6, v8, v6
	v_pack_b32_f16 v2, v7, v2
	v_add_nc_u32_e32 v186, 0x3400, v154
	v_fma_f16 v157, 0x2b26, v95, v119
	v_fma_f16 v152, 0x2b26, v90, v133
	;; [unrolled: 1-line block ×3, first 2 shown]
	v_add_f16_e32 v86, v0, v30
	ds_store_2addr_b32 v186, v6, v2 offset0:4 offset1:200
	v_sub_f16_e32 v2, v18, v4
	v_add_f16_e32 v4, v12, v20
	v_sub_f16_e32 v0, v30, v0
	v_add_f16_e32 v6, v17, v31
	v_add_f16_e64 v157, v157, v211
	v_add_f16_e64 v152, v152, v168
	v_fmac_f16_e64 v135, 0x370e, v188
	v_pack_b32_f16 v2, v2, v4
	v_pack_b32_f16 v0, v0, v6
	v_add_nc_u32_e32 v188, 0x4000, v154
	v_sub_f16_e64 v180, v152, v136
	v_add_f16_e64 v137, v135, v157
	v_sub_f16_e32 v87, v31, v17
	v_pack_b32_f16 v14, v14, v15
	v_sub_f16_e32 v15, v10, v13
	ds_store_2addr_b32 v188, v2, v0 offset0:20 offset1:216
	v_sub_f16_e64 v0, v224, v179
	v_add_f16_e64 v2, v122, v215
	v_sub_f16_e64 v4, v157, v135
	v_add_f16_e64 v6, v136, v152
	v_pack_b32_f16 v137, v137, v180
	v_pack_b32_f16 v86, v86, v87
	v_add_nc_u32_e32 v119, 0x1b00, v154
	v_pack_b32_f16 v15, v15, v16
	v_add_nc_u32_e32 v180, 0x2700, v154
	v_pack_b32_f16 v0, v0, v2
	v_pack_b32_f16 v2, v4, v6
	v_add_nc_u32_e32 v215, 0x4c00, v154
	ds_store_2addr_b32 v22, v132, v137 offset0:20 offset1:216
	ds_store_2addr_b32 v119, v21, v86 offset0:36 offset1:232
	;; [unrolled: 1-line block ×3, first 2 shown]
	v_lshrrev_b32_e32 v8, 16, v222
	ds_store_2addr_b32 v215, v0, v2 offset0:36 offset1:232
	s_clause 0x1
	global_load_b64 v[86:87], v[28:29], off offset:17236
	global_load_b128 v[28:31], v[28:29], off offset:17220
	v_lshrrev_b32_e32 v0, 16, v91
	v_lshrrev_b32_e32 v13, 16, v3
	;; [unrolled: 1-line block ×4, first 2 shown]
	v_pack_b32_f16 v18, v88, v159
	v_mov_b32_e32 v187, v119
	v_mov_b32_e32 v211, v22
	s_wait_loadcnt 0x1
	v_lshrrev_b32_e32 v221, 16, v87
	s_wait_loadcnt 0x0
	v_lshrrev_b32_e32 v95, 16, v28
	v_lshrrev_b32_e32 v92, 16, v29
	;; [unrolled: 1-line block ×3, first 2 shown]
	v_mul_f16_e64 v16, v15, v221
	s_delay_alu instid0(VALU_DEP_4)
	v_mul_f16_e32 v4, v91, v95
	v_mul_f16_e32 v2, v0, v95
	v_mul_f16_e64 v7, v220, v92
	v_mul_f16_e64 v9, v8, v223
	;; [unrolled: 1-line block ×3, first 2 shown]
	v_fmac_f16_e32 v4, v0, v28
	v_lshrrev_b32_e32 v0, 16, v220
	v_fma_f16 v16, v5, v87, -v16
	v_fma_f16 v9, v222, v30, -v9
	v_lshrrev_b32_e32 v222, 16, v31
	v_mul_f16_e64 v5, v5, v221
	v_mul_f16_e32 v6, v0, v92
	v_fma_f16 v2, v91, v28, -v2
	v_fmac_f16_e32 v7, v0, v29
	v_mul_f16_e64 v12, v11, v222
	v_fmac_f16_e32 v5, v15, v87
	v_fma_f16 v6, v220, v29, -v6
	v_lshrrev_b32_e32 v220, 16, v86
	v_fmac_f16_e32 v10, v8, v30
	v_fma_f16 v12, v1, v31, -v12
	v_mul_f16_e64 v1, v1, v222
	v_add_f16_e32 v0, v2, v16
	v_mul_f16_e64 v14, v13, v220
	v_add_f16_e32 v19, v4, v5
	v_sub_f16_e32 v4, v4, v5
	v_fmac_f16_e32 v1, v11, v31
	v_add_f16_e32 v11, v9, v12
	v_fma_f16 v14, v3, v86, -v14
	v_mul_f16_e64 v3, v3, v220
	v_lshrrev_b32_e32 v15, 16, v89
	v_add_f16_e32 v21, v10, v1
	v_sub_f16_e32 v2, v2, v16
	v_add_f16_e32 v8, v6, v14
	v_fmac_f16_e32 v3, v13, v86
	v_sub_f16_e32 v5, v6, v14
	v_sub_f16_e32 v6, v12, v9
	;; [unrolled: 1-line block ×3, first 2 shown]
	v_add_f16_e32 v13, v8, v0
	v_add_f16_e32 v20, v7, v3
	v_sub_f16_e32 v3, v7, v3
	v_add_f16_e32 v12, v6, v5
	v_sub_f16_e32 v7, v8, v0
	v_add_f16_e32 v13, v11, v13
	v_add_f16_e32 v88, v20, v19
	v_sub_f16_e32 v0, v0, v11
	v_sub_f16_e32 v8, v11, v8
	v_sub_f16_e32 v14, v6, v5
	v_add_f16_e32 v17, v89, v13
	v_add_f16_e32 v88, v21, v88
	v_sub_f16_e32 v6, v2, v6
	v_sub_f16_e32 v5, v5, v2
	v_add_f16_e32 v2, v12, v2
	v_add_f16_e32 v12, v1, v3
	v_add_f16_e32 v15, v15, v88
	v_sub_f16_e32 v10, v19, v21
	v_sub_f16_e32 v11, v21, v20
	v_sub_f16_e32 v16, v1, v3
	v_sub_f16_e32 v1, v4, v1
	v_pack_b32_f16 v89, v17, v15
	v_sub_f16_e32 v3, v3, v4
	v_add_f16_e32 v4, v12, v4
	v_fmamk_f16 v12, v13, 0xbcab, v17
	v_fmamk_f16 v13, v88, 0xbcab, v15
	v_mul_f16_e32 v0, 0x3a52, v0
	v_mul_f16_e32 v15, 0x2b26, v8
	v_sub_f16_e32 v9, v20, v19
	ds_store_2addr_b32 v124, v18, v89 offset0:8 offset1:204
	v_fmamk_f16 v8, v8, 0x2b26, v0
	v_fma_f16 v15, v7, 0x39e0, -v15
	v_fma_f16 v0, v7, 0xb9e0, -v0
	v_mul_f16_e32 v7, 0x3a52, v10
	v_mul_f16_e32 v10, 0x2b26, v11
	s_delay_alu instid0(VALU_DEP_3) | instskip(NEXT) | instid1(VALU_DEP_3)
	v_add_f16_e32 v0, v0, v12
	v_fmamk_f16 v11, v11, 0x2b26, v7
	s_delay_alu instid0(VALU_DEP_3)
	v_fma_f16 v10, v9, 0x39e0, -v10
	v_fma_f16 v7, v9, 0xb9e0, -v7
	v_mul_f16_e32 v9, 0xb846, v14
	v_mul_f16_e32 v14, 0xbb00, v5
	v_add_f16_e32 v11, v11, v13
	v_add_f16_e32 v10, v10, v13
	;; [unrolled: 1-line block ×3, first 2 shown]
	v_fma_f16 v5, v5, 0x3b00, -v9
	v_fmamk_f16 v9, v6, 0x3574, v9
	v_fmac_f16_e32 v14, 0xb574, v6
	v_mul_f16_e32 v6, 0xb846, v16
	v_mul_f16_e32 v16, 0xbb00, v3
	v_fmac_f16_e32 v5, 0x370e, v2
	v_fmac_f16_e32 v9, 0x370e, v2
	;; [unrolled: 1-line block ×3, first 2 shown]
	v_fma_f16 v3, v3, 0x3b00, -v6
	v_fmamk_f16 v6, v1, 0x3574, v6
	v_fmac_f16_e32 v16, 0xb574, v1
	v_add_f16_e32 v1, v8, v12
	v_add_f16_e32 v8, v15, v12
	v_fmac_f16_e32 v3, 0x370e, v4
	v_fmac_f16_e32 v6, 0x370e, v4
	v_fmac_f16_e32 v16, 0x370e, v4
	v_add_f16_e32 v4, v5, v10
	v_sub_f16_e32 v5, v10, v5
	v_sub_f16_e32 v2, v8, v3
	v_add_f16_e32 v12, v6, v1
	v_sub_f16_e32 v1, v1, v6
	v_sub_f16_e32 v6, v11, v9
	v_add_f16_e32 v3, v3, v8
	v_add_f16_e32 v8, v16, v0
	v_sub_f16_e32 v10, v7, v14
	v_sub_f16_e32 v0, v0, v16
	v_add_f16_e32 v7, v14, v7
	v_add_f16_e32 v9, v9, v11
	v_pack_b32_f16 v6, v12, v6
	v_pack_b32_f16 v8, v8, v10
	;; [unrolled: 1-line block ×6, first 2 shown]
	ds_store_b32 v154, v6 offset:5488
	ds_store_b32 v154, v8 offset:8624
	;; [unrolled: 1-line block ×6, first 2 shown]
	global_wb scope:SCOPE_SE
	s_wait_dscnt 0x0
	s_barrier_signal -1
	s_barrier_wait -1
	global_inv scope:SCOPE_SE
	s_clause 0x1
	global_load_b32 v2, v154, s[4:5] offset:21952
	global_load_b32 v14, v154, s[2:3] offset:21168
	ds_load_2addr_b32 v[0:1], v154 offset1:196
	s_wait_dscnt 0x0
	v_lshrrev_b32_e32 v4, 16, v0
	v_lshrrev_b32_e32 v7, 16, v1
	s_wait_loadcnt 0x1
	v_lshrrev_b32_e32 v3, 16, v2
	s_delay_alu instid0(VALU_DEP_1) | instskip(SKIP_1) | instid1(VALU_DEP_2)
	v_mul_f16_e32 v5, v0, v3
	v_mul_f16_e32 v3, v4, v3
	v_fmac_f16_e32 v5, v4, v2
	s_delay_alu instid0(VALU_DEP_2)
	v_fma_f16 v0, v0, v2, -v3
	s_clause 0x5
	global_load_b32 v2, v154, s[2:3] offset:784
	global_load_b32 v3, v154, s[2:3] offset:1568
	;; [unrolled: 1-line block ×6, first 2 shown]
	v_pack_b32_f16 v0, v0, v5
	ds_store_b32 v154, v0
	ds_load_2addr_b32 v[10:11], v162 offset0:16 offset1:212
	s_wait_loadcnt 0x5
	v_lshrrev_b32_e32 v8, 16, v2
	s_delay_alu instid0(VALU_DEP_1) | instskip(SKIP_1) | instid1(VALU_DEP_2)
	v_mul_f16_e32 v9, v7, v8
	v_mul_f16_e32 v8, v1, v8
	v_fma_f16 v9, v1, v2, -v9
	ds_load_2addr_b32 v[0:1], v124 offset0:8 offset1:204
	v_fmac_f16_e32 v8, v7, v2
	s_wait_loadcnt 0x4
	v_lshrrev_b32_e32 v2, 16, v3
	s_wait_dscnt 0x0
	v_lshrrev_b32_e32 v5, 16, v0
	s_delay_alu instid0(VALU_DEP_2) | instskip(NEXT) | instid1(VALU_DEP_2)
	v_mul_f16_e32 v7, v0, v2
	v_mul_f16_e32 v2, v5, v2
	s_delay_alu instid0(VALU_DEP_2) | instskip(NEXT) | instid1(VALU_DEP_2)
	v_fmac_f16_e32 v7, v5, v3
	v_fma_f16 v0, v0, v3, -v2
	v_pack_b32_f16 v2, v9, v8
	v_add_nc_u32_e32 v3, 0x300, v154
	s_delay_alu instid0(VALU_DEP_3) | instskip(SKIP_4) | instid1(VALU_DEP_1)
	v_pack_b32_f16 v0, v0, v7
	ds_store_2addr_b32 v3, v2, v0 offset0:4 offset1:200
	v_lshrrev_b32_e32 v0, 16, v1
	s_wait_loadcnt 0x3
	v_lshrrev_b32_e32 v2, 16, v4
	v_mul_f16_e32 v3, v0, v2
	v_mul_f16_e32 v2, v1, v2
	s_delay_alu instid0(VALU_DEP_2) | instskip(NEXT) | instid1(VALU_DEP_2)
	v_fma_f16 v1, v1, v4, -v3
	v_fmac_f16_e32 v2, v0, v4
	s_wait_loadcnt 0x2
	v_lshrrev_b32_e32 v0, 16, v6
	v_lshrrev_b32_e32 v3, 16, v10
	s_delay_alu instid0(VALU_DEP_3) | instskip(NEXT) | instid1(VALU_DEP_3)
	v_pack_b32_f16 v1, v1, v2
	v_mul_f16_e32 v4, v10, v0
	s_delay_alu instid0(VALU_DEP_3) | instskip(SKIP_1) | instid1(VALU_DEP_3)
	v_mul_f16_e32 v0, v3, v0
	v_add_nc_u32_e32 v2, 0x900, v154
	v_fmac_f16_e32 v4, v3, v6
	s_delay_alu instid0(VALU_DEP_3) | instskip(NEXT) | instid1(VALU_DEP_1)
	v_fma_f16 v0, v10, v6, -v0
	v_pack_b32_f16 v0, v0, v4
	ds_store_2addr_b32 v2, v1, v0 offset0:12 offset1:208
	s_clause 0x1
	global_load_b32 v0, v154, s[2:3] offset:6272
	global_load_b32 v1, v154, s[2:3] offset:5488
	ds_load_2addr_b32 v[9:10], v161 offset0:32 offset1:228
	ds_load_2addr_b32 v[12:13], v128 offset0:24 offset1:220
	s_wait_dscnt 0x1
	v_lshrrev_b32_e32 v3, 16, v9
	s_wait_loadcnt 0x1
	v_lshrrev_b32_e32 v2, 16, v0
	s_delay_alu instid0(VALU_DEP_1) | instskip(NEXT) | instid1(VALU_DEP_3)
	v_mul_f16_e32 v4, v9, v2
	v_mul_f16_e32 v2, v3, v2
	s_delay_alu instid0(VALU_DEP_2) | instskip(NEXT) | instid1(VALU_DEP_2)
	v_fmac_f16_e32 v4, v3, v0
	v_fma_f16 v0, v9, v0, -v2
	s_wait_loadcnt 0x0
	v_lshrrev_b32_e32 v2, 16, v1
	s_wait_dscnt 0x0
	v_lshrrev_b32_e32 v3, 16, v13
	v_pack_b32_f16 v0, v0, v4
	s_delay_alu instid0(VALU_DEP_3) | instskip(NEXT) | instid1(VALU_DEP_3)
	v_mul_f16_e32 v5, v13, v2
	v_mul_f16_e32 v2, v3, v2
	s_delay_alu instid0(VALU_DEP_2) | instskip(NEXT) | instid1(VALU_DEP_2)
	v_fmac_f16_e32 v5, v3, v1
	v_fma_f16 v1, v13, v1, -v2
	v_add_nc_u32_e32 v2, 0x1500, v154
	s_delay_alu instid0(VALU_DEP_2)
	v_pack_b32_f16 v1, v1, v5
	ds_store_2addr_b32 v2, v1, v0 offset0:28 offset1:224
	s_clause 0x3
	global_load_b32 v0, v154, s[2:3] offset:9408
	global_load_b32 v13, v154, s[2:3] offset:10192
	global_load_b32 v17, v154, s[2:3] offset:10976
	global_load_b32 v1, v154, s[2:3] offset:8624
	ds_load_2addr_b32 v[88:89], v160 offset0:48 offset1:244
	ds_load_2addr_b32 v[90:91], v127 offset0:40 offset1:236
	global_load_b32 v18, v154, s[2:3] offset:7840
	s_wait_dscnt 0x1
	v_lshrrev_b32_e32 v3, 16, v88
	s_wait_loadcnt 0x4
	v_lshrrev_b32_e32 v2, 16, v0
	s_delay_alu instid0(VALU_DEP_1) | instskip(NEXT) | instid1(VALU_DEP_3)
	v_mul_f16_e32 v4, v88, v2
	v_mul_f16_e32 v2, v3, v2
	s_delay_alu instid0(VALU_DEP_2) | instskip(NEXT) | instid1(VALU_DEP_2)
	v_fmac_f16_e32 v4, v3, v0
	v_fma_f16 v0, v88, v0, -v2
	s_wait_loadcnt 0x1
	v_lshrrev_b32_e32 v2, 16, v1
	s_wait_dscnt 0x0
	v_lshrrev_b32_e32 v3, 16, v91
	v_pack_b32_f16 v0, v0, v4
	s_delay_alu instid0(VALU_DEP_3) | instskip(NEXT) | instid1(VALU_DEP_3)
	v_mul_f16_e32 v5, v91, v2
	v_mul_f16_e32 v2, v3, v2
	s_delay_alu instid0(VALU_DEP_2) | instskip(NEXT) | instid1(VALU_DEP_2)
	v_fmac_f16_e32 v5, v3, v1
	v_fma_f16 v1, v91, v1, -v2
	v_add_nc_u32_e32 v2, 0x2100, v154
	s_delay_alu instid0(VALU_DEP_2)
	v_pack_b32_f16 v1, v1, v5
	ds_store_2addr_b32 v2, v1, v0 offset0:44 offset1:240
	s_clause 0x1
	global_load_b32 v0, v154, s[2:3] offset:12544
	global_load_b32 v1, v154, s[2:3] offset:11760
	ds_load_2addr_b32 v[2:3], v158 offset1:196
	ds_load_2addr_b32 v[8:9], v138 offset0:56 offset1:252
	s_wait_dscnt 0x1
	v_lshrrev_b32_e32 v5, 16, v2
	s_wait_loadcnt 0x1
	v_lshrrev_b32_e32 v4, 16, v0
	s_delay_alu instid0(VALU_DEP_1) | instskip(NEXT) | instid1(VALU_DEP_3)
	v_mul_f16_e32 v6, v2, v4
	v_mul_f16_e32 v4, v5, v4
	s_delay_alu instid0(VALU_DEP_2) | instskip(NEXT) | instid1(VALU_DEP_2)
	v_fmac_f16_e32 v6, v5, v0
	v_fma_f16 v0, v2, v0, -v4
	s_wait_loadcnt 0x0
	v_lshrrev_b32_e32 v2, 16, v1
	s_wait_dscnt 0x0
	v_lshrrev_b32_e32 v4, 16, v9
	v_pack_b32_f16 v0, v0, v6
	s_delay_alu instid0(VALU_DEP_3) | instskip(NEXT) | instid1(VALU_DEP_3)
	v_mul_f16_e32 v5, v9, v2
	v_mul_f16_e32 v2, v4, v2
	s_delay_alu instid0(VALU_DEP_2) | instskip(NEXT) | instid1(VALU_DEP_2)
	v_fmac_f16_e32 v5, v4, v1
	v_fma_f16 v1, v9, v1, -v2
	v_add_nc_u32_e32 v2, 0x2d80, v154
	s_delay_alu instid0(VALU_DEP_2)
	v_pack_b32_f16 v1, v1, v5
	ds_store_2addr_b32 v2, v1, v0 offset0:28 offset1:224
	s_clause 0x3
	global_load_b32 v0, v154, s[2:3] offset:15680
	global_load_b32 v9, v154, s[2:3] offset:16464
	;; [unrolled: 1-line block ×4, first 2 shown]
	ds_load_2addr_b32 v[1:2], v155 offset0:16 offset1:212
	global_load_b32 v21, v154, s[2:3] offset:14112
	s_wait_dscnt 0x0
	v_lshrrev_b32_e32 v6, 16, v1
	s_wait_loadcnt 0x4
	v_lshrrev_b32_e32 v5, 16, v0
	s_delay_alu instid0(VALU_DEP_1) | instskip(NEXT) | instid1(VALU_DEP_3)
	v_mul_f16_e32 v20, v1, v5
	v_mul_f16_e32 v5, v6, v5
	s_delay_alu instid0(VALU_DEP_2) | instskip(SKIP_4) | instid1(VALU_DEP_2)
	v_fmac_f16_e32 v20, v6, v0
	ds_load_2addr_b32 v[6:7], v197 offset0:8 offset1:204
	v_fma_f16 v0, v1, v0, -v5
	s_wait_loadcnt 0x1
	v_lshrrev_b32_e32 v1, 16, v4
	v_pack_b32_f16 v0, v0, v20
	s_wait_dscnt 0x0
	v_lshrrev_b32_e32 v5, 16, v7
	s_delay_alu instid0(VALU_DEP_3) | instskip(NEXT) | instid1(VALU_DEP_2)
	v_mul_f16_e32 v88, v7, v1
	v_mul_f16_e32 v1, v5, v1
	s_delay_alu instid0(VALU_DEP_2) | instskip(NEXT) | instid1(VALU_DEP_2)
	v_fmac_f16_e32 v88, v5, v4
	v_fma_f16 v1, v7, v4, -v1
	v_add_nc_u32_e32 v4, 0x3a00, v154
	s_delay_alu instid0(VALU_DEP_2)
	v_pack_b32_f16 v1, v1, v88
	ds_store_2addr_b32 v4, v1, v0 offset0:12 offset1:208
	s_clause 0x1
	global_load_b32 v4, v154, s[2:3] offset:18816
	global_load_b32 v7, v154, s[2:3] offset:18032
	ds_load_2addr_b32 v[0:1], v150 offset0:32 offset1:228
	s_wait_dscnt 0x0
	v_lshrrev_b32_e32 v20, 16, v0
	s_wait_loadcnt 0x1
	v_lshrrev_b32_e32 v5, 16, v4
	s_delay_alu instid0(VALU_DEP_1) | instskip(NEXT) | instid1(VALU_DEP_3)
	v_mul_f16_e32 v88, v0, v5
	v_mul_f16_e32 v5, v20, v5
	s_delay_alu instid0(VALU_DEP_2) | instskip(NEXT) | instid1(VALU_DEP_2)
	v_fmac_f16_e32 v88, v20, v4
	v_fma_f16 v0, v0, v4, -v5
	ds_load_2addr_b32 v[4:5], v194 offset0:24 offset1:220
	s_wait_loadcnt 0x0
	v_lshrrev_b32_e32 v20, 16, v7
	v_pack_b32_f16 v0, v0, v88
	s_wait_dscnt 0x0
	v_lshrrev_b32_e32 v91, 16, v5
	s_delay_alu instid0(VALU_DEP_3) | instskip(NEXT) | instid1(VALU_DEP_2)
	v_mul_f16_e32 v115, v5, v20
	v_mul_f16_e32 v20, v91, v20
	s_delay_alu instid0(VALU_DEP_2) | instskip(NEXT) | instid1(VALU_DEP_2)
	v_fmac_f16_e32 v115, v91, v7
	v_fma_f16 v5, v5, v7, -v20
	v_add_nc_u32_e32 v7, 0x4600, v154
	s_delay_alu instid0(VALU_DEP_2) | instskip(SKIP_3) | instid1(VALU_DEP_1)
	v_pack_b32_f16 v5, v5, v115
	ds_store_2addr_b32 v7, v5, v0 offset0:28 offset1:224
	v_lshrrev_b32_e32 v0, 16, v11
	v_lshrrev_b32_e32 v5, 16, v15
	v_mul_f16_e32 v7, v0, v5
	v_mul_f16_e32 v5, v11, v5
	s_delay_alu instid0(VALU_DEP_2) | instskip(NEXT) | instid1(VALU_DEP_2)
	v_fma_f16 v7, v11, v15, -v7
	v_fmac_f16_e32 v5, v0, v15
	global_load_b32 v0, v154, s[2:3] offset:7056
	v_lshrrev_b32_e32 v11, 16, v10
	s_wait_loadcnt 0x0
	v_lshrrev_b32_e32 v15, 16, v0
	s_delay_alu instid0(VALU_DEP_1) | instskip(SKIP_1) | instid1(VALU_DEP_2)
	v_mul_f16_e32 v20, v11, v15
	v_mul_f16_e32 v15, v10, v15
	v_fma_f16 v10, v10, v0, -v20
	s_delay_alu instid0(VALU_DEP_2) | instskip(SKIP_2) | instid1(VALU_DEP_1)
	v_fmac_f16_e32 v15, v11, v0
	v_lshrrev_b32_e32 v0, 16, v89
	v_lshrrev_b32_e32 v11, 16, v13
	v_mul_f16_e32 v20, v0, v11
	v_mul_f16_e32 v11, v89, v11
	s_delay_alu instid0(VALU_DEP_2) | instskip(NEXT) | instid1(VALU_DEP_2)
	v_fma_f16 v20, v89, v13, -v20
	v_fmac_f16_e32 v11, v0, v13
	global_load_b32 v0, v154, s[2:3] offset:13328
	v_lshrrev_b32_e32 v13, 16, v3
	s_wait_loadcnt 0x0
	v_lshrrev_b32_e32 v88, 16, v0
	s_delay_alu instid0(VALU_DEP_1) | instskip(SKIP_1) | instid1(VALU_DEP_2)
	v_mul_f16_e32 v89, v13, v88
	v_mul_f16_e32 v88, v3, v88
	v_fma_f16 v3, v3, v0, -v89
	s_delay_alu instid0(VALU_DEP_2) | instskip(SKIP_2) | instid1(VALU_DEP_1)
	v_fmac_f16_e32 v88, v13, v0
	v_lshrrev_b32_e32 v0, 16, v2
	v_lshrrev_b32_e32 v13, 16, v9
	v_mul_f16_e32 v89, v0, v13
	v_mul_f16_e32 v13, v2, v13
	s_delay_alu instid0(VALU_DEP_2) | instskip(NEXT) | instid1(VALU_DEP_2)
	v_fma_f16 v2, v2, v9, -v89
	v_fmac_f16_e32 v13, v0, v9
	v_lshrrev_b32_e32 v0, 16, v12
	v_lshrrev_b32_e32 v9, 16, v16
	s_delay_alu instid0(VALU_DEP_1) | instskip(SKIP_1) | instid1(VALU_DEP_2)
	v_mul_f16_e32 v89, v0, v9
	v_mul_f16_e32 v9, v12, v9
	v_fma_f16 v12, v12, v16, -v89
	s_delay_alu instid0(VALU_DEP_2)
	v_fmac_f16_e32 v9, v0, v16
	s_clause 0x1
	global_load_b32 v0, v154, s[2:3] offset:19600
	global_load_b32 v16, v154, s[2:3] offset:20384
	v_lshrrev_b32_e32 v89, 16, v1
	s_wait_loadcnt 0x1
	v_lshrrev_b32_e32 v91, 16, v0
	s_delay_alu instid0(VALU_DEP_1) | instskip(SKIP_1) | instid1(VALU_DEP_2)
	v_mul_f16_e32 v115, v89, v91
	v_mul_f16_e32 v91, v1, v91
	v_fma_f16 v115, v1, v0, -v115
	s_delay_alu instid0(VALU_DEP_2)
	v_fmac_f16_e32 v91, v89, v0
	v_pack_b32_f16 v0, v7, v5
	v_pack_b32_f16 v1, v12, v9
	v_lshrrev_b32_e32 v7, 16, v17
	ds_store_2addr_b32 v22, v0, v1 offset0:20 offset1:216
	v_lshrrev_b32_e32 v0, 16, v90
	v_lshrrev_b32_e32 v1, 16, v18
	v_lshrrev_b32_e32 v22, 16, v32
	s_delay_alu instid0(VALU_DEP_2) | instskip(SKIP_1) | instid1(VALU_DEP_2)
	v_mul_f16_e32 v5, v0, v1
	v_mul_f16_e32 v1, v90, v1
	v_fma_f16 v5, v90, v18, -v5
	s_delay_alu instid0(VALU_DEP_2) | instskip(SKIP_1) | instid1(VALU_DEP_2)
	v_fmac_f16_e32 v1, v0, v18
	v_lshrrev_b32_e32 v0, 16, v8
	v_pack_b32_f16 v1, v5, v1
	s_delay_alu instid0(VALU_DEP_2) | instskip(SKIP_1) | instid1(VALU_DEP_2)
	v_mul_f16_e32 v9, v0, v7
	v_mul_f16_e32 v7, v8, v7
	v_fma_f16 v8, v8, v17, -v9
	s_delay_alu instid0(VALU_DEP_2)
	v_fmac_f16_e32 v7, v0, v17
	v_pack_b32_f16 v0, v10, v15
	ds_store_2addr_b32 v119, v0, v1 offset0:36 offset1:232
	v_pack_b32_f16 v0, v20, v11
	v_pack_b32_f16 v1, v8, v7
	ds_store_2addr_b32 v180, v0, v1 offset0:52 offset1:248
	v_lshrrev_b32_e32 v0, 16, v6
	v_lshrrev_b32_e32 v1, 16, v21
	s_delay_alu instid0(VALU_DEP_1) | instskip(SKIP_1) | instid1(VALU_DEP_2)
	v_mul_f16_e32 v5, v0, v1
	v_mul_f16_e32 v1, v6, v1
	v_fma_f16 v5, v6, v21, -v5
	s_delay_alu instid0(VALU_DEP_2) | instskip(SKIP_2) | instid1(VALU_DEP_3)
	v_fmac_f16_e32 v1, v0, v21
	v_lshrrev_b32_e32 v0, 16, v4
	v_lshrrev_b32_e32 v6, 16, v19
	v_pack_b32_f16 v1, v5, v1
	s_delay_alu instid0(VALU_DEP_2) | instskip(SKIP_1) | instid1(VALU_DEP_2)
	v_mul_f16_e32 v7, v0, v6
	v_mul_f16_e32 v6, v4, v6
	v_fma_f16 v4, v4, v19, -v7
	s_delay_alu instid0(VALU_DEP_2)
	v_fmac_f16_e32 v6, v0, v19
	v_pack_b32_f16 v0, v3, v88
	ds_store_2addr_b32 v186, v0, v1 offset0:4 offset1:200
	v_pack_b32_f16 v0, v2, v13
	v_pack_b32_f16 v1, v4, v6
	s_wait_loadcnt 0x0
	v_lshrrev_b32_e32 v2, 16, v16
	ds_store_2addr_b32 v188, v0, v1 offset0:20 offset1:216
	ds_load_2addr_b32 v[0:1], v116 offset0:40 offset1:236
	s_wait_dscnt 0x0
	v_lshrrev_b32_e32 v3, 16, v0
	v_mul_f16_e32 v4, v0, v2
	s_delay_alu instid0(VALU_DEP_2) | instskip(NEXT) | instid1(VALU_DEP_2)
	v_mul_f16_e32 v2, v3, v2
	v_fmac_f16_e32 v4, v3, v16
	v_lshrrev_b32_e32 v3, 16, v14
	s_delay_alu instid0(VALU_DEP_3) | instskip(SKIP_1) | instid1(VALU_DEP_2)
	v_fma_f16 v0, v0, v16, -v2
	v_lshrrev_b32_e32 v2, 16, v1
	v_pack_b32_f16 v0, v0, v4
	s_delay_alu instid0(VALU_DEP_2) | instskip(SKIP_1) | instid1(VALU_DEP_2)
	v_mul_f16_e32 v5, v2, v3
	v_mul_f16_e32 v3, v1, v3
	v_fma_f16 v1, v1, v14, -v5
	s_delay_alu instid0(VALU_DEP_2)
	v_fmac_f16_e32 v3, v2, v14
	v_pack_b32_f16 v2, v115, v91
	ds_store_2addr_b32 v215, v2, v0 offset0:36 offset1:232
	v_pack_b32_f16 v0, v1, v3
	ds_store_b32 v154, v0 offset:21168
	global_wb scope:SCOPE_SE
	s_wait_dscnt 0x0
	s_barrier_signal -1
	s_barrier_wait -1
	global_inv scope:SCOPE_SE
	ds_load_2addr_b32 v[88:89], v162 offset0:16 offset1:212
	ds_load_2addr_b32 v[90:91], v150 offset0:32 offset1:228
	;; [unrolled: 1-line block ×5, first 2 shown]
	ds_load_2addr_b32 v[10:11], v158 offset1:196
	s_wait_dscnt 0x5
	v_lshrrev_b32_e32 v0, 16, v88
	s_wait_dscnt 0x4
	v_lshrrev_b32_e32 v1, 16, v90
	;; [unrolled: 2-line block ×3, first 2 shown]
	v_add_f16_e32 v12, v16, v8
	s_wait_dscnt 0x0
	v_lshrrev_b32_e32 v5, 16, v10
	v_add_f16_e32 v2, v0, v1
	v_sub_f16_e32 v0, v0, v1
	v_lshrrev_b32_e32 v1, 16, v16
	v_add_f16_e32 v7, v18, v10
	v_sub_f16_e32 v16, v16, v8
	v_sub_f16_e32 v8, v10, v18
	;; [unrolled: 1-line block ×3, first 2 shown]
	v_add_f16_e32 v4, v1, v3
	v_sub_f16_e32 v1, v1, v3
	v_lshrrev_b32_e32 v3, 16, v18
	v_sub_f16_e32 v15, v7, v12
	v_add_f16_e32 v18, v8, v16
	v_sub_f16_e32 v21, v8, v16
	s_delay_alu instid0(VALU_DEP_4)
	v_add_f16_e32 v6, v3, v5
	v_sub_f16_e32 v3, v5, v3
	v_add_f16_e32 v5, v88, v90
	v_sub_f16_e32 v88, v10, v8
	v_mul_f16_e32 v21, 0x3846, v21
	v_add_f16_e32 v18, v18, v10
	v_add_f16_e32 v8, v3, v1
	v_add_f16_e32 v13, v12, v5
	v_sub_f16_e32 v14, v5, v7
	v_sub_f16_e32 v90, v3, v1
	;; [unrolled: 1-line block ×3, first 2 shown]
	v_add_f16_e32 v115, v8, v0
	v_add_f16_e32 v13, v7, v13
	;; [unrolled: 1-line block ×3, first 2 shown]
	v_mul_f16_e32 v14, 0x3a52, v14
	v_mul_f16_e32 v90, 0x3846, v90
	v_fma_f16 v132, 0xb574, v88, v21
	v_sub_f16_e32 v5, v12, v5
	v_add_f16_e32 v20, v6, v7
	v_sub_f16_e32 v7, v2, v6
	v_sub_f16_e32 v6, v6, v4
	;; [unrolled: 1-line block ×4, first 2 shown]
	v_fmamk_f16 v122, v15, 0x2b26, v14
	v_mul_f16_e32 v119, 0x3a52, v7
	ds_load_2addr_b32 v[7:8], v154 offset1:196
	v_fma_f16 v129, 0xb574, v3, v90
	v_sub_f16_e32 v0, v1, v0
	v_mul_f16_e32 v1, 0x2b26, v15
	v_fmamk_f16 v125, v6, 0x2b26, v119
	v_mul_f16_e32 v6, 0x2b26, v6
	v_mul_f16_e32 v16, 0x3b00, v4
	v_fmac_f16_e64 v129, 0xb70e, v115
	v_fmac_f16_e64 v132, 0xb70e, v18
	v_fma_f16 v1, v5, 0x39e0, -v1
	v_fma_f16 v6, v2, 0x39e0, -v6
	;; [unrolled: 1-line block ×3, first 2 shown]
	v_fmac_f16_e32 v16, 0x3574, v88
	v_fma_f16 v88, v0, 0xbb00, -v90
	v_mul_f16_e32 v90, 0x3b00, v0
	v_fma_f16 v5, v5, 0xb9e0, -v14
	v_fma_f16 v2, v2, 0xb9e0, -v119
	v_fmac_f16_e32 v10, 0xb70e, v18
	v_fmac_f16_e32 v88, 0xb70e, v115
	;; [unrolled: 1-line block ×3, first 2 shown]
	s_wait_dscnt 0x0
	v_add_f16_e32 v121, v7, v13
	v_lshrrev_b32_e32 v7, 16, v7
	v_fmac_f16_e32 v16, 0xb70e, v18
	v_fmac_f16_e32 v90, 0xb70e, v115
	s_delay_alu instid0(VALU_DEP_4) | instskip(NEXT) | instid1(VALU_DEP_4)
	v_fmamk_f16 v13, v13, 0xbcab, v121
	v_add_f16_e32 v7, v7, v20
	s_delay_alu instid0(VALU_DEP_2) | instskip(NEXT) | instid1(VALU_DEP_2)
	v_add_f16_e32 v122, v122, v13
	v_fmamk_f16 v20, v20, 0xbcab, v7
	v_add_f16_e32 v119, v1, v13
	v_pack_b32_f16 v121, v121, v7
	s_delay_alu instid0(VALU_DEP_4) | instskip(NEXT) | instid1(VALU_DEP_4)
	v_add_f16_e64 v133, v122, v129
	v_add_f16_e32 v125, v125, v20
	v_add_f16_e64 v135, v6, v20
	v_add_f16_e64 v136, v2, v20
	v_sub_f16_e32 v0, v119, v88
	v_add_f16_e32 v88, v88, v119
	v_sub_f16_e64 v134, v125, v132
	v_add_f16_e64 v1, v10, v135
	v_sub_f16_e64 v10, v135, v10
	s_delay_alu instid0(VALU_DEP_3) | instskip(SKIP_1) | instid1(VALU_DEP_4)
	v_pack_b32_f16 v133, v133, v134
	v_add_f16_e64 v134, v5, v13
	v_pack_b32_f16 v18, v0, v1
	v_sub_f16_e64 v1, v136, v16
	v_add_f16_e64 v16, v16, v136
	v_pack_b32_f16 v10, v88, v10
	v_add_f16_e64 v0, v90, v134
	v_sub_f16_e64 v90, v134, v90
	v_add_f16_e64 v88, v132, v125
	s_delay_alu instid0(VALU_DEP_3)
	v_pack_b32_f16 v115, v0, v1
	ds_load_2addr_b32 v[20:21], v124 offset0:8 offset1:204
	ds_load_2addr_b32 v[12:13], v128 offset0:24 offset1:220
	;; [unrolled: 1-line block ×7, first 2 shown]
	global_wb scope:SCOPE_SE
	s_wait_dscnt 0x0
	s_barrier_signal -1
	s_barrier_wait -1
	global_inv scope:SCOPE_SE
	ds_store_2addr_b32 v170, v121, v133 offset1:1
	ds_store_2addr_b32 v170, v115, v18 offset0:2 offset1:3
	v_sub_f16_e64 v18, v122, v129
	v_pack_b32_f16 v16, v90, v16
	v_lshrrev_b32_e32 v90, 16, v91
	v_add_f16_e32 v115, v19, v11
	v_lshrrev_b32_e32 v121, 16, v8
	v_pack_b32_f16 v18, v18, v88
	ds_store_2addr_b32 v170, v10, v16 offset0:4 offset1:5
	ds_store_b32 v170, v18 offset:24
	v_lshrrev_b32_e32 v10, 16, v17
	v_add_f16_e32 v16, v17, v9
	v_sub_f16_e32 v17, v17, v9
	v_lshrrev_b32_e32 v9, 16, v9
	v_lshrrev_b32_e32 v18, 16, v89
	v_add_f16_e32 v88, v89, v91
	v_sub_f16_e32 v89, v89, v91
	v_lshrrev_b32_e32 v91, 16, v19
	v_sub_f16_e32 v19, v11, v19
	v_lshrrev_b32_e32 v11, 16, v11
	v_add_f16_e32 v119, v18, v90
	v_sub_f16_e32 v18, v18, v90
	v_add_f16_e32 v90, v10, v9
	v_sub_f16_e32 v9, v10, v9
	;; [unrolled: 2-line block ×3, first 2 shown]
	v_add_f16_e32 v91, v16, v88
	v_add_f16_e32 v125, v90, v119
	v_sub_f16_e64 v133, v19, v17
	v_sub_f16_e64 v129, v119, v10
	v_sub_f16_e32 v122, v88, v115
	v_add_f16_e32 v91, v115, v91
	v_sub_f16_e32 v115, v115, v16
	v_add_f16_e32 v125, v10, v125
	v_sub_f16_e32 v10, v10, v90
	v_add_f16_e64 v132, v19, v17
	v_add_f16_e64 v134, v11, v9
	v_sub_f16_e64 v135, v11, v9
	v_mul_f16_e64 v129, 0x3a52, v129
	v_mul_f16_e64 v133, 0x3846, v133
	v_sub_f16_e32 v17, v17, v89
	v_add_f16_e32 v8, v8, v91
	v_sub_f16_e32 v19, v89, v19
	v_add_f16_e64 v132, v132, v89
	v_sub_f16_e32 v11, v18, v11
	v_add_f16_e64 v134, v134, v18
	v_mul_f16_e32 v122, 0x3a52, v122
	v_mul_f16_e64 v135, 0x3846, v135
	v_add_f16_e32 v121, v121, v125
	v_fma_f16 v137, 0x2b26, v10, v129
	v_sub_f16_e32 v16, v16, v88
	v_sub_f16_e32 v88, v90, v119
	;; [unrolled: 1-line block ×3, first 2 shown]
	v_mul_f16_e32 v18, 0x2b26, v115
	v_mul_f16_e32 v10, 0x2b26, v10
	v_fma_f16 v89, v17, 0xbb00, -v133
	v_mul_f16_e32 v17, 0x3b00, v17
	v_fmamk_f16 v91, v91, 0xbcab, v8
	v_fma_f16 v136, 0x2b26, v115, v122
	v_fmamk_f16 v125, v125, 0xbcab, v121
	v_fma_f16 v152, 0xb574, v11, v135
	v_fma_f16 v157, 0xb574, v19, v133
	v_fma_f16 v18, v16, 0x39e0, -v18
	v_fma_f16 v10, v88, 0x39e0, -v10
	v_fmac_f16_e32 v17, 0x3574, v19
	v_fma_f16 v19, v9, 0xbb00, -v135
	v_mul_f16_e32 v9, 0x3b00, v9
	v_add_f16_e64 v136, v136, v91
	v_add_f16_e64 v137, v137, v125
	v_fmac_f16_e64 v152, 0xb70e, v134
	v_fmac_f16_e64 v157, 0xb70e, v132
	v_fma_f16 v16, v16, 0xb9e0, -v122
	v_fma_f16 v88, v88, 0xb9e0, -v129
	v_fmac_f16_e32 v9, 0x3574, v11
	v_add_f16_e32 v11, v18, v91
	v_add_f16_e32 v10, v10, v125
	v_fmac_f16_e64 v89, 0xb70e, v132
	v_fmac_f16_e64 v19, 0xb70e, v134
	v_add_f16_e64 v159, v136, v152
	v_sub_f16_e64 v168, v137, v157
	v_add_f16_e32 v16, v16, v91
	v_add_f16_e32 v18, v88, v125
	v_fmac_f16_e64 v17, 0xb70e, v132
	v_fmac_f16_e64 v9, 0xb70e, v134
	v_sub_f16_e32 v88, v11, v19
	v_add_f16_e32 v90, v89, v10
	v_pack_b32_f16 v159, v159, v168
	v_pack_b32_f16 v8, v8, v121
	v_sub_f16_e32 v91, v18, v17
	v_sub_f16_e32 v10, v10, v89
	v_pack_b32_f16 v88, v88, v90
	v_add_f16_e32 v90, v9, v16
	v_sub_f16_e32 v9, v16, v9
	s_delay_alu instid0(VALU_DEP_2)
	v_pack_b32_f16 v90, v90, v91
	ds_store_2addr_b32 v172, v8, v159 offset1:1
	v_add_f16_e32 v8, v19, v11
	v_add_f16_e32 v11, v17, v18
	v_lshrrev_b32_e32 v17, 16, v6
	ds_store_2addr_b32 v172, v90, v88 offset0:2 offset1:3
	v_add_f16_e32 v19, v14, v0
	v_pack_b32_f16 v8, v8, v10
	v_pack_b32_f16 v9, v9, v11
	v_sub_f16_e64 v10, v136, v152
	v_add_f16_e64 v11, v157, v137
	v_add_f16_e32 v88, v4, v6
	s_delay_alu instid0(VALU_DEP_2)
	v_pack_b32_f16 v10, v10, v11
	ds_store_2addr_b32 v172, v8, v9 offset0:4 offset1:5
	ds_store_b32 v172, v10 offset:24
	v_lshrrev_b32_e32 v8, 16, v12
	v_lshrrev_b32_e32 v9, 16, v2
	;; [unrolled: 1-line block ×3, first 2 shown]
	v_sub_f16_e32 v0, v14, v0
	s_delay_alu instid0(VALU_DEP_3) | instskip(SKIP_2) | instid1(VALU_DEP_1)
	v_add_f16_e32 v10, v8, v9
	v_sub_f16_e32 v8, v8, v9
	v_lshrrev_b32_e32 v9, 16, v14
	v_add_f16_e32 v16, v9, v11
	v_sub_f16_e32 v9, v9, v11
	v_lshrrev_b32_e32 v11, 16, v4
	v_sub_f16_e32 v4, v6, v4
	s_delay_alu instid0(VALU_DEP_4) | instskip(NEXT) | instid1(VALU_DEP_3)
	v_add_f16_e32 v91, v16, v10
	v_add_f16_e32 v18, v11, v17
	v_sub_f16_e32 v11, v17, v11
	v_add_f16_e32 v17, v12, v2
	v_sub_f16_e32 v2, v12, v2
	v_sub_f16_e32 v12, v4, v0
	v_add_f16_e32 v91, v18, v91
	v_sub_f16_e32 v115, v10, v18
	v_add_f16_e32 v89, v19, v17
	v_sub_f16_e32 v90, v17, v88
	v_sub_f16_e32 v18, v18, v16
	v_add_f16_e32 v6, v4, v0
	v_sub_f16_e32 v4, v2, v4
	v_add_f16_e32 v89, v88, v89
	;; [unrolled: 2-line block ×3, first 2 shown]
	v_sub_f16_e32 v119, v11, v9
	v_mul_f16_e32 v12, 0x3846, v12
	v_add_f16_e32 v121, v20, v89
	v_lshrrev_b32_e32 v20, 16, v20
	v_sub_f16_e32 v0, v0, v2
	v_add_f16_e32 v6, v6, v2
	v_sub_f16_e32 v11, v8, v11
	v_add_f16_e32 v14, v14, v8
	v_mul_f16_e32 v119, 0x3846, v119
	v_add_f16_e32 v20, v20, v91
	v_fma_f16 v132, 0xb574, v4, v12
	v_sub_f16_e32 v17, v19, v17
	v_sub_f16_e32 v10, v16, v10
	;; [unrolled: 1-line block ×3, first 2 shown]
	v_mul_f16_e32 v8, 0x2b26, v88
	v_mul_f16_e32 v16, 0x2b26, v18
	v_fma_f16 v12, v0, 0xbb00, -v12
	v_mul_f16_e32 v0, 0x3b00, v0
	v_mul_f16_e32 v90, 0x3a52, v90
	;; [unrolled: 1-line block ×3, first 2 shown]
	v_fmamk_f16 v89, v89, 0xbcab, v121
	v_fmamk_f16 v91, v91, 0xbcab, v20
	v_fma_f16 v8, v17, 0x39e0, -v8
	v_fma_f16 v16, v10, 0x39e0, -v16
	v_fmac_f16_e32 v0, 0x3574, v4
	v_fma_f16 v4, v2, 0xbb00, -v119
	v_mul_f16_e32 v2, 0x3b00, v2
	v_fmamk_f16 v122, v88, 0x2b26, v90
	v_fmamk_f16 v125, v18, 0x2b26, v115
	v_fma_f16 v129, 0xb574, v11, v119
	v_fma_f16 v9, v17, 0xb9e0, -v90
	v_fma_f16 v10, v10, 0xb9e0, -v115
	v_fmac_f16_e32 v2, 0x3574, v11
	v_add_f16_e32 v8, v8, v89
	v_add_f16_e32 v11, v16, v91
	v_fmac_f16_e32 v12, 0xb70e, v6
	v_fmac_f16_e32 v4, 0xb70e, v14
	v_add_f16_e32 v122, v122, v89
	v_add_f16_e32 v125, v125, v91
	v_fmac_f16_e64 v129, 0xb70e, v14
	v_fmac_f16_e64 v132, 0xb70e, v6
	v_add_f16_e32 v9, v9, v89
	v_add_f16_e32 v10, v10, v91
	v_fmac_f16_e32 v0, 0xb70e, v6
	v_fmac_f16_e32 v2, 0xb70e, v14
	v_sub_f16_e32 v6, v8, v4
	v_add_f16_e32 v14, v12, v11
	v_add_f16_e64 v133, v122, v129
	v_sub_f16_e64 v134, v125, v132
	v_sub_f16_e32 v16, v10, v0
	v_pack_b32_f16 v20, v121, v20
	v_pack_b32_f16 v6, v6, v14
	v_add_f16_e32 v14, v2, v9
	v_pack_b32_f16 v133, v133, v134
	v_add_f16_e32 v4, v4, v8
	v_sub_f16_e32 v2, v9, v2
	v_add_f16_e32 v0, v0, v10
	v_pack_b32_f16 v14, v14, v16
	v_sub_f16_e32 v8, v11, v12
	ds_store_2addr_b32 v171, v20, v133 offset1:1
	v_sub_f16_e32 v9, v13, v3
	v_pack_b32_f16 v0, v2, v0
	ds_store_2addr_b32 v171, v14, v6 offset0:2 offset1:3
	v_pack_b32_f16 v2, v4, v8
	v_sub_f16_e64 v4, v122, v129
	v_add_f16_e64 v6, v132, v125
	v_add_f16_e32 v8, v13, v3
	v_lshrrev_b32_e32 v3, 16, v3
	v_lshrrev_b32_e32 v10, 16, v5
	v_add_f16_e32 v11, v5, v7
	v_pack_b32_f16 v4, v4, v6
	ds_store_2addr_b32 v171, v2, v0 offset0:4 offset1:5
	ds_store_b32 v171, v4 offset:24
	v_lshrrev_b32_e32 v0, 16, v15
	v_add_f16_e32 v2, v15, v1
	v_sub_f16_e32 v4, v15, v1
	v_lshrrev_b32_e32 v1, 16, v1
	v_lshrrev_b32_e32 v6, 16, v13
	v_sub_f16_e32 v5, v7, v5
	v_lshrrev_b32_e32 v7, 16, v7
	v_lshrrev_b32_e32 v13, 16, v21
	v_sub_f16_e32 v15, v8, v11
	v_add_f16_e32 v12, v6, v3
	v_sub_f16_e32 v3, v6, v3
	v_add_f16_e32 v6, v0, v1
	;; [unrolled: 2-line block ×4, first 2 shown]
	v_add_f16_e32 v16, v6, v12
	v_sub_f16_e32 v19, v5, v4
	v_sub_f16_e32 v17, v12, v1
	v_add_f16_e32 v18, v5, v4
	v_add_f16_e32 v10, v11, v10
	v_sub_f16_e32 v11, v11, v2
	v_add_f16_e32 v16, v1, v16
	v_sub_f16_e32 v1, v1, v6
	v_add_f16_e32 v20, v7, v0
	v_add_f16_e32 v14, v21, v10
	v_sub_f16_e32 v21, v7, v0
	v_mul_f16_e32 v17, 0x3a52, v17
	v_mul_f16_e32 v19, 0x3846, v19
	v_sub_f16_e32 v4, v4, v9
	v_sub_f16_e32 v5, v9, v5
	;; [unrolled: 1-line block ×3, first 2 shown]
	v_add_f16_e32 v20, v20, v3
	v_mul_f16_e32 v21, 0x3846, v21
	v_add_f16_e32 v13, v13, v16
	v_fmamk_f16 v89, v1, 0x2b26, v17
	v_sub_f16_e32 v2, v2, v8
	v_sub_f16_e32 v6, v6, v12
	;; [unrolled: 1-line block ×3, first 2 shown]
	v_mul_f16_e32 v3, 0x2b26, v11
	v_mul_f16_e32 v1, 0x2b26, v1
	v_fma_f16 v8, v4, 0xbb00, -v19
	v_mul_f16_e32 v4, 0x3b00, v4
	v_add_f16_e32 v18, v18, v9
	v_mul_f16_e32 v15, 0x3a52, v15
	v_fmamk_f16 v10, v10, 0xbcab, v14
	v_fmamk_f16 v16, v16, 0xbcab, v13
	;; [unrolled: 1-line block ×3, first 2 shown]
	v_fma_f16 v3, v2, 0x39e0, -v3
	v_fma_f16 v1, v6, 0x39e0, -v1
	v_fmac_f16_e32 v4, 0x3574, v5
	v_fma_f16 v5, v0, 0xbb00, -v21
	v_mul_f16_e32 v0, 0x3b00, v0
	v_fma_f16 v2, v2, 0xb9e0, -v15
	v_fma_f16 v6, v6, 0xb9e0, -v17
	v_add_f16_e32 v3, v3, v10
	v_add_f16_e32 v1, v1, v16
	v_fmac_f16_e32 v0, 0x3574, v7
	v_fmac_f16_e32 v8, 0xb70e, v18
	;; [unrolled: 1-line block ×3, first 2 shown]
	v_fmamk_f16 v88, v11, 0x2b26, v15
	v_fmamk_f16 v90, v7, 0xb574, v21
	v_add_f16_e32 v2, v2, v10
	v_add_f16_e32 v6, v6, v16
	v_fmac_f16_e32 v4, 0xb70e, v18
	v_fmac_f16_e32 v0, 0xb70e, v20
	v_sub_f16_e32 v7, v3, v5
	v_add_f16_e32 v9, v8, v1
	v_add_f16_e32 v88, v88, v10
	;; [unrolled: 1-line block ×3, first 2 shown]
	v_fmac_f16_e32 v90, 0xb70e, v20
	v_fmac_f16_e32 v91, 0xb70e, v18
	v_pack_b32_f16 v7, v7, v9
	v_add_f16_e32 v9, v0, v2
	v_add_f16_e32 v3, v5, v3
	v_sub_f16_e32 v0, v2, v0
	v_add_f16_e32 v2, v4, v6
	v_sub_f16_e32 v1, v1, v8
	;; [unrolled: 2-line block ×3, first 2 shown]
	v_sub_f16_e32 v10, v6, v4
	v_pack_b32_f16 v0, v0, v2
	v_pack_b32_f16 v1, v3, v1
	v_sub_f16_e32 v2, v88, v90
	v_add_f16_e32 v3, v91, v89
	v_pack_b32_f16 v115, v115, v119
	v_pack_b32_f16 v13, v14, v13
	;; [unrolled: 1-line block ×3, first 2 shown]
	v_lshrrev_b32_e32 v6, 16, v42
	v_pack_b32_f16 v2, v2, v3
	v_lshrrev_b32_e32 v12, 16, v43
	ds_store_2addr_b32 v169, v13, v115 offset1:1
	ds_store_2addr_b32 v169, v9, v7 offset0:2 offset1:3
	ds_store_2addr_b32 v169, v1, v0 offset0:4 offset1:5
	ds_store_b32 v169, v2 offset:24
	global_wb scope:SCOPE_SE
	s_wait_dscnt 0x0
	s_barrier_signal -1
	s_barrier_wait -1
	global_inv scope:SCOPE_SE
	ds_load_2addr_b32 v[0:1], v161 offset0:32 offset1:228
	s_wait_dscnt 0x0
	v_lshrrev_b32_e32 v2, 16, v0
	v_mul_f16_e64 v3, v148, v0
	s_delay_alu instid0(VALU_DEP_2) | instskip(NEXT) | instid1(VALU_DEP_2)
	v_mul_f16_e64 v7, v148, v2
	v_fma_f16 v8, v41, v2, -v3
	ds_load_2addr_b32 v[2:3], v138 offset0:56 offset1:252
	v_fmac_f16_e32 v7, v41, v0
	v_lshrrev_b32_e32 v0, 16, v1
	s_delay_alu instid0(VALU_DEP_1) | instskip(NEXT) | instid1(VALU_DEP_1)
	v_mul_f16_e32 v13, v120, v0
	v_fmac_f16_e32 v13, v50, v1
	v_mul_f16_e32 v1, v120, v1
	s_wait_dscnt 0x0
	v_lshrrev_b32_e32 v4, 16, v3
	v_mul_f16_e32 v5, v6, v3
	s_delay_alu instid0(VALU_DEP_3)
	v_fma_f16 v15, v50, v0, -v1
	ds_load_2addr_b32 v[0:1], v158 offset1:196
	v_mul_f16_e32 v9, v6, v4
	v_fma_f16 v10, v42, v4, -v5
	ds_load_2addr_b32 v[4:5], v194 offset0:24 offset1:220
	v_fmac_f16_e32 v9, v42, v3
	s_wait_dscnt 0x0
	v_lshrrev_b32_e32 v6, 16, v4
	v_mul_f16_e32 v11, v12, v4
	v_lshrrev_b32_e32 v3, 16, v5
	s_delay_alu instid0(VALU_DEP_3) | instskip(NEXT) | instid1(VALU_DEP_3)
	v_mul_f16_e32 v12, v12, v6
	v_fma_f16 v11, v43, v6, -v11
	s_delay_alu instid0(VALU_DEP_3) | instskip(SKIP_1) | instid1(VALU_DEP_4)
	v_mul_f16_e64 v14, v189, v3
	v_mul_f16_e32 v6, v109, v0
	v_fmac_f16_e32 v12, v43, v4
	v_mul_f16_e64 v4, v189, v5
	s_delay_alu instid0(VALU_DEP_4)
	v_fmac_f16_e32 v14, v52, v5
	v_lshrrev_b32_e32 v5, 16, v0
	v_sub_f16_e32 v11, v8, v11
	v_sub_f16_e32 v12, v7, v12
	v_fma_f16 v18, v52, v3, -v4
	v_lshrrev_b32_e32 v3, 16, v1
	v_mul_f16_e32 v16, v109, v5
	v_mul_f16_e32 v4, v23, v1
	v_fma_f16 v17, v51, v5, -v6
	v_fma_f16 v7, v7, 2.0, -v12
	v_mul_f16_e32 v19, v23, v3
	v_fmac_f16_e32 v16, v51, v0
	v_fma_f16 v23, v177, v3, -v4
	ds_load_2addr_b32 v[3:4], v150 offset0:32 offset1:228
	v_fma_f16 v8, v8, 2.0, -v11
	v_fmac_f16_e64 v19, v177, v1
	ds_load_2addr_b32 v[0:1], v127 offset0:40 offset1:236
	s_wait_dscnt 0x0
	v_lshrrev_b32_e32 v5, 16, v0
	v_mul_f16_e32 v6, v49, v0
	s_delay_alu instid0(VALU_DEP_2) | instskip(NEXT) | instid1(VALU_DEP_2)
	v_mul_f16_e32 v20, v49, v5
	v_fma_f16 v21, v176, v5, -v6
	v_lshrrev_b32_e32 v5, 16, v3
	v_mul_f16_e32 v6, v106, v3
	s_delay_alu instid0(VALU_DEP_4) | instskip(SKIP_1) | instid1(VALU_DEP_4)
	v_fmac_f16_e64 v20, v176, v0
	v_lshrrev_b32_e32 v0, 16, v1
	v_mul_f16_e32 v41, v106, v5
	s_delay_alu instid0(VALU_DEP_4) | instskip(NEXT) | instid1(VALU_DEP_3)
	v_fma_f16 v42, v178, v5, -v6
	v_mul_f16_e32 v43, v48, v0
	s_delay_alu instid0(VALU_DEP_3) | instskip(SKIP_1) | instid1(VALU_DEP_3)
	v_fmac_f16_e64 v41, v178, v3
	v_lshrrev_b32_e32 v3, 16, v4
	v_fmac_f16_e64 v43, v173, v1
	v_mul_f16_e32 v1, v48, v1
	s_delay_alu instid0(VALU_DEP_3) | instskip(NEXT) | instid1(VALU_DEP_2)
	v_mul_f16_e64 v48, v198, v3
	v_fma_f16 v49, v173, v0, -v1
	ds_load_2addr_b32 v[0:1], v197 offset0:8 offset1:204
	v_fmac_f16_e64 v48, v175, v4
	v_mul_f16_e64 v4, v198, v4
	s_delay_alu instid0(VALU_DEP_1)
	v_fma_f16 v52, v175, v3, -v4
	s_wait_dscnt 0x0
	v_lshrrev_b32_e32 v5, 16, v0
	v_lshrrev_b32_e32 v3, 16, v1
	v_mul_f16_e64 v6, v200, v0
	v_mul_f16_e64 v4, v205, v1
	s_delay_alu instid0(VALU_DEP_4) | instskip(NEXT) | instid1(VALU_DEP_4)
	v_mul_f16_e64 v50, v200, v5
	v_mul_f16_e64 v88, v205, v3
	s_delay_alu instid0(VALU_DEP_4) | instskip(NEXT) | instid1(VALU_DEP_3)
	v_fma_f16 v51, v174, v5, -v6
	v_fmac_f16_e64 v50, v174, v0
	s_delay_alu instid0(VALU_DEP_3)
	v_fmac_f16_e32 v88, v39, v1
	ds_load_2addr_b32 v[0:1], v160 offset0:48 offset1:244
	v_fma_f16 v39, v39, v3, -v4
	ds_load_2addr_b32 v[3:4], v116 offset0:40 offset1:236
	s_wait_dscnt 0x1
	v_lshrrev_b32_e32 v5, 16, v0
	v_mul_f16_e64 v6, v207, v0
	s_delay_alu instid0(VALU_DEP_2) | instskip(NEXT) | instid1(VALU_DEP_2)
	v_mul_f16_e64 v89, v207, v5
	v_fma_f16 v90, v38, v5, -v6
	s_wait_dscnt 0x0
	v_lshrrev_b32_e32 v5, 16, v3
	v_mul_f16_e64 v6, v206, v3
	v_fmac_f16_e32 v89, v38, v0
	v_lshrrev_b32_e32 v0, 16, v1
	s_delay_alu instid0(VALU_DEP_4) | instskip(NEXT) | instid1(VALU_DEP_4)
	v_mul_f16_e64 v91, v206, v5
	v_fma_f16 v109, v40, v5, -v6
	s_delay_alu instid0(VALU_DEP_3) | instskip(NEXT) | instid1(VALU_DEP_3)
	v_mul_f16_e64 v38, v210, v0
	v_fmac_f16_e32 v91, v40, v3
	v_lshrrev_b32_e32 v3, 16, v4
	s_delay_alu instid0(VALU_DEP_3) | instskip(SKIP_1) | instid1(VALU_DEP_3)
	v_fmac_f16_e32 v38, v35, v1
	v_mul_f16_e64 v1, v210, v1
	v_mul_f16_e64 v40, v209, v3
	s_delay_alu instid0(VALU_DEP_2) | instskip(SKIP_3) | instid1(VALU_DEP_1)
	v_fma_f16 v35, v35, v0, -v1
	ds_load_2addr_b32 v[0:1], v155 offset0:16 offset1:212
	v_fmac_f16_e32 v40, v37, v4
	v_mul_f16_e64 v4, v209, v4
	v_fma_f16 v37, v37, v3, -v4
	v_lshrrev_b32_e32 v3, 16, v2
	s_wait_dscnt 0x0
	v_lshrrev_b32_e32 v5, 16, v0
	v_mul_f16_e64 v6, v208, v0
	s_delay_alu instid0(VALU_DEP_2) | instskip(NEXT) | instid1(VALU_DEP_2)
	v_mul_f16_e64 v115, v208, v5
	v_fma_f16 v119, v36, v5, -v6
	v_lshrrev_b32_e32 v5, 16, v1
	s_delay_alu instid0(VALU_DEP_3) | instskip(SKIP_1) | instid1(VALU_DEP_1)
	v_fmac_f16_e32 v115, v36, v0
	v_lshrrev_b32_e32 v0, 16, v33
	v_mul_f16_e32 v4, v0, v3
	s_delay_alu instid0(VALU_DEP_1) | instskip(SKIP_2) | instid1(VALU_DEP_2)
	v_fmac_f16_e32 v4, v33, v2
	v_mul_f16_e32 v2, v0, v2
	v_lshrrev_b32_e32 v0, 16, v34
	v_fma_f16 v3, v33, v3, -v2
	s_delay_alu instid0(VALU_DEP_2) | instskip(SKIP_1) | instid1(VALU_DEP_2)
	v_mul_f16_e32 v6, v0, v5
	v_mul_f16_e32 v36, v0, v1
	v_fmac_f16_e32 v6, v34, v1
	ds_load_2addr_b32 v[0:1], v128 offset0:24 offset1:220
	v_fma_f16 v5, v34, v5, -v36
	s_wait_dscnt 0x0
	v_lshrrev_b32_e32 v120, 16, v1
	v_mul_f16_e32 v121, v22, v1
	s_delay_alu instid0(VALU_DEP_2) | instskip(NEXT) | instid1(VALU_DEP_2)
	v_mul_f16_e32 v122, v22, v120
	v_fma_f16 v120, v32, v120, -v121
	s_delay_alu instid0(VALU_DEP_2) | instskip(SKIP_3) | instid1(VALU_DEP_2)
	v_fmac_f16_e32 v122, v32, v1
	ds_load_2addr_b32 v[1:2], v154 offset1:196
	v_sub_f16_e32 v5, v120, v5
	v_sub_f16_e32 v6, v122, v6
	v_fma_f16 v34, v120, 2.0, -v5
	s_delay_alu instid0(VALU_DEP_2) | instskip(SKIP_3) | instid1(VALU_DEP_2)
	v_fma_f16 v33, v122, 2.0, -v6
	s_wait_dscnt 0x0
	v_lshrrev_b32_e32 v32, 16, v1
	v_sub_f16_e32 v4, v1, v4
	v_sub_f16_e32 v3, v32, v3
	s_delay_alu instid0(VALU_DEP_2) | instskip(NEXT) | instid1(VALU_DEP_2)
	v_fma_f16 v1, v1, 2.0, -v4
	v_fma_f16 v32, v32, 2.0, -v3
	s_delay_alu instid0(VALU_DEP_2) | instskip(SKIP_1) | instid1(VALU_DEP_3)
	v_sub_f16_e32 v33, v1, v33
	v_sub_f16_e32 v36, v3, v6
	;; [unrolled: 1-line block ×3, first 2 shown]
	s_delay_alu instid0(VALU_DEP_3) | instskip(NEXT) | instid1(VALU_DEP_3)
	v_fma_f16 v1, v1, 2.0, -v33
	v_fma_f16 v3, v3, 2.0, -v36
	s_delay_alu instid0(VALU_DEP_3) | instskip(NEXT) | instid1(VALU_DEP_1)
	v_fma_f16 v32, v32, 2.0, -v34
	v_pack_b32_f16 v1, v1, v32
	v_add_f16_e32 v32, v4, v5
	s_delay_alu instid0(VALU_DEP_1) | instskip(SKIP_1) | instid1(VALU_DEP_2)
	v_fma_f16 v4, v4, 2.0, -v32
	v_pack_b32_f16 v32, v32, v36
	v_pack_b32_f16 v120, v4, v3
	ds_load_2addr_b32 v[3:4], v124 offset0:8 offset1:204
	ds_load_2addr_b32 v[5:6], v162 offset0:16 offset1:212
	global_wb scope:SCOPE_SE
	s_wait_dscnt 0x0
	s_barrier_signal -1
	s_barrier_wait -1
	global_inv scope:SCOPE_SE
	scratch_load_b32 v22, off, off offset:144 th:TH_LOAD_LU ; 4-byte Folded Reload
	s_wait_loadcnt 0x0
	ds_store_2addr_b32 v22, v1, v120 offset1:7
	v_pack_b32_f16 v1, v33, v34
	ds_store_2addr_b32 v22, v1, v32 offset0:14 offset1:21
	v_sub_f16_e32 v1, v2, v9
	v_lshrrev_b32_e32 v9, 16, v2
	s_delay_alu instid0(VALU_DEP_2) | instskip(NEXT) | instid1(VALU_DEP_2)
	v_fma_f16 v2, v2, 2.0, -v1
	v_sub_f16_e32 v10, v9, v10
	s_delay_alu instid0(VALU_DEP_2) | instskip(NEXT) | instid1(VALU_DEP_2)
	v_sub_f16_e32 v7, v2, v7
	v_fma_f16 v9, v9, 2.0, -v10
	s_delay_alu instid0(VALU_DEP_2) | instskip(NEXT) | instid1(VALU_DEP_2)
	v_fma_f16 v2, v2, 2.0, -v7
	v_sub_f16_e32 v8, v9, v8
	s_delay_alu instid0(VALU_DEP_1) | instskip(NEXT) | instid1(VALU_DEP_1)
	v_fma_f16 v9, v9, 2.0, -v8
	v_pack_b32_f16 v2, v2, v9
	v_add_f16_e32 v9, v1, v11
	v_sub_f16_e32 v11, v10, v12
	s_delay_alu instid0(VALU_DEP_2) | instskip(NEXT) | instid1(VALU_DEP_2)
	v_fma_f16 v1, v1, 2.0, -v9
	v_fma_f16 v10, v10, 2.0, -v11
	s_delay_alu instid0(VALU_DEP_1)
	v_pack_b32_f16 v1, v1, v10
	scratch_load_b32 v10, off, off offset:148 th:TH_LOAD_LU ; 4-byte Folded Reload
	s_wait_loadcnt 0x0
	ds_store_2addr_b32 v10, v2, v1 offset1:7
	v_pack_b32_f16 v1, v7, v8
	v_pack_b32_f16 v2, v9, v11
	v_sub_f16_e32 v7, v13, v14
	v_sub_f16_e32 v8, v15, v18
	;; [unrolled: 1-line block ×3, first 2 shown]
	ds_store_2addr_b32 v10, v1, v2 offset0:14 offset1:21
	v_lshrrev_b32_e32 v1, 16, v3
	v_fma_f16 v10, v13, 2.0, -v7
	v_fma_f16 v11, v15, 2.0, -v8
	v_fma_f16 v3, v3, 2.0, -v9
	s_delay_alu instid0(VALU_DEP_4) | instskip(NEXT) | instid1(VALU_DEP_2)
	v_sub_f16_e32 v2, v1, v17
	v_sub_f16_e32 v10, v3, v10
	s_delay_alu instid0(VALU_DEP_2) | instskip(SKIP_1) | instid1(VALU_DEP_3)
	v_fma_f16 v1, v1, 2.0, -v2
	v_sub_f16_e32 v7, v2, v7
	v_fma_f16 v3, v3, 2.0, -v10
	s_delay_alu instid0(VALU_DEP_3) | instskip(NEXT) | instid1(VALU_DEP_3)
	v_sub_f16_e32 v11, v1, v11
	v_fma_f16 v2, v2, 2.0, -v7
	s_delay_alu instid0(VALU_DEP_2) | instskip(NEXT) | instid1(VALU_DEP_1)
	v_fma_f16 v1, v1, 2.0, -v11
	v_pack_b32_f16 v1, v3, v1
	v_add_f16_e32 v3, v9, v8
	s_delay_alu instid0(VALU_DEP_1) | instskip(NEXT) | instid1(VALU_DEP_1)
	v_fma_f16 v8, v9, 2.0, -v3
	v_pack_b32_f16 v2, v8, v2
	scratch_load_b32 v8, off, off offset:152 th:TH_LOAD_LU ; 4-byte Folded Reload
	s_wait_loadcnt 0x0
	ds_store_2addr_b32 v8, v1, v2 offset1:7
	v_pack_b32_f16 v1, v10, v11
	v_pack_b32_f16 v2, v3, v7
	v_sub_f16_e32 v7, v20, v41
	ds_store_2addr_b32 v8, v1, v2 offset0:14 offset1:21
	v_sub_f16_e32 v1, v4, v19
	v_lshrrev_b32_e32 v2, 16, v4
	v_sub_f16_e32 v8, v21, v42
	v_fma_f16 v9, v20, 2.0, -v7
	s_delay_alu instid0(VALU_DEP_4) | instskip(NEXT) | instid1(VALU_DEP_4)
	v_fma_f16 v3, v4, 2.0, -v1
	v_sub_f16_e32 v4, v2, v23
	s_delay_alu instid0(VALU_DEP_4) | instskip(NEXT) | instid1(VALU_DEP_3)
	v_fma_f16 v10, v21, 2.0, -v8
	v_sub_f16_e32 v9, v3, v9
	s_delay_alu instid0(VALU_DEP_3) | instskip(SKIP_1) | instid1(VALU_DEP_3)
	v_fma_f16 v2, v2, 2.0, -v4
	v_sub_f16_e32 v7, v4, v7
	v_fma_f16 v3, v3, 2.0, -v9
	s_delay_alu instid0(VALU_DEP_3) | instskip(NEXT) | instid1(VALU_DEP_3)
	v_sub_f16_e32 v10, v2, v10
	v_fma_f16 v4, v4, 2.0, -v7
	s_delay_alu instid0(VALU_DEP_2) | instskip(NEXT) | instid1(VALU_DEP_1)
	v_fma_f16 v2, v2, 2.0, -v10
	v_pack_b32_f16 v2, v3, v2
	v_add_f16_e32 v3, v1, v8
	s_delay_alu instid0(VALU_DEP_1) | instskip(NEXT) | instid1(VALU_DEP_1)
	v_fma_f16 v1, v1, 2.0, -v3
	v_pack_b32_f16 v1, v1, v4
	scratch_load_b32 v4, off, off offset:156 th:TH_LOAD_LU ; 4-byte Folded Reload
	s_wait_loadcnt 0x0
	ds_store_2addr_b32 v4, v2, v1 offset1:7
	v_pack_b32_f16 v1, v9, v10
	v_pack_b32_f16 v2, v3, v7
	v_sub_f16_e32 v3, v43, v48
	v_sub_f16_e32 v7, v5, v50
	ds_store_2addr_b32 v4, v1, v2 offset0:14 offset1:21
	v_lshrrev_b32_e32 v1, 16, v5
	v_sub_f16_e32 v4, v49, v52
	v_fma_f16 v8, v43, 2.0, -v3
	v_fma_f16 v5, v5, 2.0, -v7
	s_delay_alu instid0(VALU_DEP_4) | instskip(NEXT) | instid1(VALU_DEP_4)
	v_sub_f16_e32 v2, v1, v51
	v_fma_f16 v9, v49, 2.0, -v4
	v_add_f16_e32 v4, v7, v4
	s_delay_alu instid0(VALU_DEP_4) | instskip(NEXT) | instid1(VALU_DEP_4)
	v_sub_f16_e32 v8, v5, v8
	v_fma_f16 v1, v1, 2.0, -v2
	v_sub_f16_e32 v3, v2, v3
	s_delay_alu instid0(VALU_DEP_3) | instskip(NEXT) | instid1(VALU_DEP_3)
	v_fma_f16 v5, v5, 2.0, -v8
	v_sub_f16_e32 v9, v1, v9
	s_delay_alu instid0(VALU_DEP_3) | instskip(NEXT) | instid1(VALU_DEP_2)
	v_fma_f16 v2, v2, 2.0, -v3
	v_fma_f16 v1, v1, 2.0, -v9
	s_delay_alu instid0(VALU_DEP_1) | instskip(SKIP_1) | instid1(VALU_DEP_1)
	v_pack_b32_f16 v1, v5, v1
	v_fma_f16 v5, v7, 2.0, -v4
	v_pack_b32_f16 v2, v5, v2
	v_sub_f16_e32 v5, v89, v91
	ds_store_2addr_b32 v143, v1, v2 offset1:7
	v_pack_b32_f16 v1, v8, v9
	v_pack_b32_f16 v2, v4, v3
	v_fma_f16 v7, v89, 2.0, -v5
	ds_store_2addr_b32 v143, v1, v2 offset0:14 offset1:21
	v_sub_f16_e32 v1, v6, v88
	v_lshrrev_b32_e32 v2, 16, v6
	s_delay_alu instid0(VALU_DEP_2) | instskip(NEXT) | instid1(VALU_DEP_2)
	v_fma_f16 v3, v6, 2.0, -v1
	v_sub_f16_e32 v4, v2, v39
	v_sub_f16_e32 v6, v90, v109
	s_delay_alu instid0(VALU_DEP_3) | instskip(NEXT) | instid1(VALU_DEP_3)
	v_sub_f16_e32 v7, v3, v7
	v_fma_f16 v2, v2, 2.0, -v4
	s_delay_alu instid0(VALU_DEP_3) | instskip(SKIP_1) | instid1(VALU_DEP_4)
	v_fma_f16 v8, v90, 2.0, -v6
	v_sub_f16_e32 v5, v4, v5
	v_fma_f16 v3, v3, 2.0, -v7
	s_delay_alu instid0(VALU_DEP_3) | instskip(NEXT) | instid1(VALU_DEP_3)
	v_sub_f16_e32 v8, v2, v8
	v_fma_f16 v4, v4, 2.0, -v5
	s_delay_alu instid0(VALU_DEP_2) | instskip(NEXT) | instid1(VALU_DEP_1)
	v_fma_f16 v2, v2, 2.0, -v8
	v_pack_b32_f16 v2, v3, v2
	v_add_f16_e32 v3, v1, v6
	s_delay_alu instid0(VALU_DEP_1) | instskip(NEXT) | instid1(VALU_DEP_1)
	v_fma_f16 v1, v1, 2.0, -v3
	v_pack_b32_f16 v1, v1, v4
	v_sub_f16_e32 v4, v38, v40
	ds_store_2addr_b32 v126, v2, v1 offset1:7
	v_pack_b32_f16 v1, v7, v8
	v_pack_b32_f16 v2, v3, v5
	v_sub_f16_e32 v5, v35, v37
	v_fma_f16 v6, v38, 2.0, -v4
	ds_store_2addr_b32 v126, v1, v2 offset0:14 offset1:21
	v_lshrrev_b32_e32 v2, 16, v0
	v_sub_f16_e32 v1, v0, v115
	v_fma_f16 v7, v35, 2.0, -v5
	s_delay_alu instid0(VALU_DEP_3) | instskip(NEXT) | instid1(VALU_DEP_3)
	v_sub_f16_e32 v3, v2, v119
	v_fma_f16 v0, v0, 2.0, -v1
	s_delay_alu instid0(VALU_DEP_2) | instskip(NEXT) | instid1(VALU_DEP_2)
	v_fma_f16 v2, v2, 2.0, -v3
	v_sub_f16_e32 v6, v0, v6
	v_sub_f16_e32 v4, v3, v4
	s_delay_alu instid0(VALU_DEP_3) | instskip(NEXT) | instid1(VALU_DEP_3)
	v_sub_f16_e32 v7, v2, v7
	v_fma_f16 v0, v0, 2.0, -v6
	s_delay_alu instid0(VALU_DEP_3) | instskip(NEXT) | instid1(VALU_DEP_3)
	v_fma_f16 v3, v3, 2.0, -v4
	v_fma_f16 v2, v2, 2.0, -v7
	s_delay_alu instid0(VALU_DEP_1) | instskip(SKIP_1) | instid1(VALU_DEP_1)
	v_pack_b32_f16 v0, v0, v2
	v_add_f16_e32 v2, v1, v5
	v_fma_f16 v1, v1, 2.0, -v2
	s_delay_alu instid0(VALU_DEP_1)
	v_pack_b32_f16 v1, v1, v3
	ds_store_2addr_b32 v111, v0, v1 offset1:7
	v_pack_b32_f16 v0, v6, v7
	v_pack_b32_f16 v1, v2, v4
	ds_store_2addr_b32 v111, v0, v1 offset0:14 offset1:21
	global_wb scope:SCOPE_SE
	s_wait_dscnt 0x0
	s_barrier_signal -1
	s_barrier_wait -1
	global_inv scope:SCOPE_SE
	ds_load_2addr_b32 v[0:1], v162 offset0:16 offset1:212
	s_wait_dscnt 0x0
	v_lshrrev_b32_e32 v2, 16, v0
	v_mul_f16_e64 v3, v195, v0
	s_delay_alu instid0(VALU_DEP_2) | instskip(NEXT) | instid1(VALU_DEP_2)
	v_mul_f16_e64 v8, v195, v2
	v_fma_f16 v9, v241, v2, -v3
	ds_load_2addr_b32 v[2:3], v161 offset0:32 offset1:228
	v_fmac_f16_e64 v8, v241, v0
	v_lshrrev_b32_e32 v0, 16, v1
	s_delay_alu instid0(VALU_DEP_1) | instskip(NEXT) | instid1(VALU_DEP_1)
	v_mul_f16_e32 v36, v93, v0
	v_fmac_f16_e64 v36, v181, v1
	v_mul_f16_e32 v1, v93, v1
	s_wait_dscnt 0x0
	v_lshrrev_b32_e32 v4, 16, v2
	v_mul_f16_e64 v5, v202, v2
	s_delay_alu instid0(VALU_DEP_3)
	v_fma_f16 v43, v181, v0, -v1
	ds_load_2addr_b32 v[0:1], v128 offset0:24 offset1:220
	v_mul_f16_e64 v10, v202, v4
	v_fma_f16 v11, v242, v4, -v5
	ds_load_2addr_b32 v[4:5], v160 offset0:48 offset1:244
	v_fmac_f16_e64 v10, v242, v2
	v_lshrrev_b32_e32 v2, 16, v3
	s_delay_alu instid0(VALU_DEP_1) | instskip(NEXT) | instid1(VALU_DEP_1)
	v_mul_f16_e32 v37, v96, v2
	v_fmac_f16_e64 v37, v182, v3
	v_mul_f16_e32 v3, v96, v3
	s_wait_dscnt 0x0
	v_lshrrev_b32_e32 v6, 16, v4
	s_delay_alu instid0(VALU_DEP_2) | instskip(SKIP_4) | instid1(VALU_DEP_4)
	v_fma_f16 v42, v182, v2, -v3
	v_lshrrev_b32_e32 v2, 16, v0
	v_mul_f16_e32 v3, v105, v0
	v_mul_f16_e64 v7, v204, v4
	v_mul_f16_e64 v48, v204, v6
	v_mul_f16_e32 v21, v105, v2
	s_delay_alu instid0(VALU_DEP_4)
	v_fma_f16 v20, v190, v2, -v3
	ds_load_2addr_b32 v[2:3], v127 offset0:40 offset1:236
	v_fma_f16 v49, v243, v6, -v7
	ds_load_2addr_b32 v[6:7], v158 offset1:196
	v_fmac_f16_e64 v48, v243, v4
	v_lshrrev_b32_e32 v4, 16, v5
	v_fmac_f16_e64 v21, v190, v0
	s_delay_alu instid0(VALU_DEP_2) | instskip(NEXT) | instid1(VALU_DEP_1)
	v_mul_f16_e32 v38, v99, v4
	v_fmac_f16_e64 v38, v183, v5
	v_mul_f16_e32 v5, v99, v5
	s_delay_alu instid0(VALU_DEP_1)
	v_fma_f16 v40, v183, v4, -v5
	s_wait_dscnt 0x1
	v_lshrrev_b32_e32 v4, 16, v2
	v_mul_f16_e32 v5, v110, v2
	s_wait_dscnt 0x0
	v_lshrrev_b32_e32 v12, 16, v6
	v_mul_f16_e64 v13, v203, v6
	v_mul_f16_e32 v23, v110, v4
	v_fma_f16 v22, v191, v4, -v5
	ds_load_2addr_b32 v[4:5], v138 offset0:56 offset1:252
	v_mul_f16_e64 v50, v203, v12
	v_fma_f16 v51, v244, v12, -v13
	v_mul_f16_e32 v12, v97, v7
	v_fmac_f16_e64 v23, v191, v2
	s_delay_alu instid0(VALU_DEP_4) | instskip(SKIP_1) | instid1(VALU_DEP_1)
	v_fmac_f16_e64 v50, v244, v6
	v_lshrrev_b32_e32 v6, 16, v7
	v_mul_f16_e32 v39, v97, v6
	v_fma_f16 v41, v184, v6, -v12
	s_delay_alu instid0(VALU_DEP_2) | instskip(SKIP_4) | instid1(VALU_DEP_3)
	v_fmac_f16_e64 v39, v184, v7
	s_wait_dscnt 0x0
	v_lshrrev_b32_e32 v6, 16, v4
	v_mul_f16_e32 v7, v114, v4
	v_lshrrev_b32_e32 v14, 16, v5
	v_mul_f16_e32 v33, v114, v6
	s_delay_alu instid0(VALU_DEP_3) | instskip(SKIP_4) | instid1(VALU_DEP_3)
	v_fma_f16 v32, v192, v6, -v7
	ds_load_2addr_b32 v[6:7], v197 offset0:8 offset1:204
	v_mul_f16_e64 v2, v163, v14
	v_fmac_f16_e64 v33, v192, v4
	v_lshrrev_b32_e32 v4, 16, v1
	v_fmac_f16_e32 v2, v46, v5
	v_mul_f16_e64 v5, v163, v5
	s_delay_alu instid0(VALU_DEP_3) | instskip(NEXT) | instid1(VALU_DEP_1)
	v_mul_f16_e64 v0, v164, v4
	v_fmac_f16_e32 v0, v44, v1
	s_wait_dscnt 0x0
	v_lshrrev_b32_e32 v12, 16, v6
	v_mul_f16_e32 v13, v113, v6
	v_lshrrev_b32_e32 v15, 16, v7
	v_mul_f16_e64 v18, v151, v7
	s_delay_alu instid0(VALU_DEP_4) | instskip(NEXT) | instid1(VALU_DEP_4)
	v_mul_f16_e32 v35, v113, v12
	v_fma_f16 v34, v193, v12, -v13
	v_lshrrev_b32_e32 v12, 16, v3
	v_mul_f16_e64 v13, v165, v3
	s_delay_alu instid0(VALU_DEP_4) | instskip(SKIP_1) | instid1(VALU_DEP_4)
	v_fmac_f16_e64 v35, v193, v6
	v_mul_f16_e64 v6, v164, v1
	v_mul_f16_e64 v1, v165, v12
	s_delay_alu instid0(VALU_DEP_4)
	v_fma_f16 v16, v45, v12, -v13
	v_fma_f16 v12, v46, v14, -v5
	v_fma_f16 v13, v47, v15, -v18
	v_fma_f16 v17, v44, v4, -v6
	ds_load_2addr_b32 v[4:5], v155 offset0:16 offset1:212
	v_fmac_f16_e32 v1, v45, v3
	v_mul_f16_e64 v3, v151, v15
	v_lshrrev_b32_e32 v18, 16, v73
	s_delay_alu instid0(VALU_DEP_2) | instskip(SKIP_3) | instid1(VALU_DEP_2)
	v_fmac_f16_e32 v3, v47, v7
	s_wait_dscnt 0x0
	v_lshrrev_b32_e32 v6, 16, v4
	v_mul_f16_e32 v7, v103, v4
	v_mul_f16_e32 v52, v103, v6
	s_delay_alu instid0(VALU_DEP_2) | instskip(SKIP_3) | instid1(VALU_DEP_1)
	v_fma_f16 v88, v72, v6, -v7
	ds_load_2addr_b32 v[6:7], v150 offset0:32 offset1:228
	v_fmac_f16_e32 v52, v72, v4
	v_lshrrev_b32_e32 v4, 16, v5
	v_mul_f16_e64 v72, v236, v4
	s_delay_alu instid0(VALU_DEP_1) | instskip(SKIP_3) | instid1(VALU_DEP_2)
	v_fmac_f16_e32 v72, v82, v5
	v_mul_f16_e64 v5, v236, v5
	s_wait_dscnt 0x0
	v_lshrrev_b32_e32 v14, 16, v6
	v_fma_f16 v82, v82, v4, -v5
	ds_load_2addr_b32 v[4:5], v194 offset0:24 offset1:220
	v_mul_f16_e32 v15, v18, v6
	v_mul_f16_e32 v89, v18, v14
	s_delay_alu instid0(VALU_DEP_2) | instskip(SKIP_1) | instid1(VALU_DEP_3)
	v_fma_f16 v90, v73, v14, -v15
	v_mul_f16_e64 v14, v237, v7
	v_fmac_f16_e32 v89, v73, v6
	v_lshrrev_b32_e32 v6, 16, v7
	s_delay_alu instid0(VALU_DEP_1) | instskip(NEXT) | instid1(VALU_DEP_1)
	v_mul_f16_e64 v73, v237, v6
	v_fmac_f16_e32 v73, v83, v7
	v_fma_f16 v83, v83, v6, -v14
	s_wait_dscnt 0x0
	v_lshrrev_b32_e32 v6, 16, v4
	v_mul_f16_e64 v7, v249, v4
	s_delay_alu instid0(VALU_DEP_2) | instskip(NEXT) | instid1(VALU_DEP_2)
	v_mul_f16_e64 v45, v249, v6
	v_fma_f16 v44, v80, v6, -v7
	ds_load_2addr_b32 v[6:7], v116 offset0:40 offset1:236
	v_fmac_f16_e32 v45, v80, v4
	v_lshrrev_b32_e32 v4, 16, v5
	v_add_f16_e32 v80, v10, v52
	v_sub_f16_e32 v10, v10, v52
	v_add_f16_e32 v52, v11, v88
	v_sub_f16_e32 v11, v11, v88
	s_wait_dscnt 0x0
	v_lshrrev_b32_e32 v14, 16, v6
	v_mul_f16_e64 v15, v245, v6
	v_mul_f16_e64 v19, v131, v7
	s_delay_alu instid0(VALU_DEP_3) | instskip(NEXT) | instid1(VALU_DEP_3)
	v_mul_f16_e64 v47, v245, v14
	v_fma_f16 v46, v81, v14, -v15
	v_mul_f16_e64 v14, v146, v4
	s_delay_alu instid0(VALU_DEP_3) | instskip(SKIP_1) | instid1(VALU_DEP_3)
	v_fmac_f16_e32 v47, v81, v6
	v_lshrrev_b32_e32 v6, 16, v7
	v_fmac_f16_e32 v14, v78, v5
	v_mul_f16_e64 v5, v146, v5
	s_delay_alu instid0(VALU_DEP_3) | instskip(SKIP_1) | instid1(VALU_DEP_3)
	v_mul_f16_e64 v18, v131, v6
	v_fma_f16 v19, v79, v6, -v19
	v_fma_f16 v15, v78, v4, -v5
	v_add_f16_e32 v78, v8, v89
	v_add_f16_e32 v6, v48, v50
	v_fmac_f16_e32 v18, v79, v7
	v_add_f16_e32 v79, v9, v90
	v_sub_f16_e32 v7, v50, v48
	v_add_f16_e32 v4, v80, v78
	v_add_f16_e32 v48, v49, v51
	v_sub_f16_e32 v49, v51, v49
	v_sub_f16_e32 v8, v8, v89
	;; [unrolled: 1-line block ×3, first 2 shown]
	v_add_f16_e32 v50, v6, v4
	v_add_f16_e32 v4, v52, v79
	v_sub_f16_e32 v88, v6, v80
	v_sub_f16_e32 v90, v7, v10
	;; [unrolled: 1-line block ×3, first 2 shown]
	v_add_f16_e32 v89, v7, v10
	v_add_f16_e32 v51, v48, v4
	ds_load_2addr_b32 v[4:5], v154 offset1:196
	v_sub_f16_e32 v91, v8, v7
	v_add_f16_e32 v7, v49, v11
	v_sub_f16_e32 v49, v9, v49
	v_mul_f16_e32 v90, 0x3846, v90
	v_mul_f16_e32 v93, 0x3846, v93
	v_add_f16_e32 v89, v89, v8
	v_add_f16_e32 v96, v7, v9
	v_sub_f16_e32 v8, v10, v8
	v_fmamk_f16 v110, v91, 0xb574, v90
	v_fmamk_f16 v109, v49, 0xb574, v93
	v_sub_f16_e32 v9, v11, v9
	v_mul_f16_e32 v10, 0x2b26, v88
	s_delay_alu instid0(VALU_DEP_4) | instskip(NEXT) | instid1(VALU_DEP_4)
	v_fmac_f16_e32 v110, 0xb70e, v89
	v_fmac_f16_e32 v109, 0xb70e, v96
	s_wait_dscnt 0x0
	v_lshrrev_b32_e32 v81, 16, v4
	v_add_f16_e32 v4, v4, v50
	s_delay_alu instid0(VALU_DEP_2) | instskip(NEXT) | instid1(VALU_DEP_2)
	v_add_f16_e32 v81, v81, v51
	v_fmamk_f16 v50, v50, 0xbcab, v4
	s_delay_alu instid0(VALU_DEP_2)
	v_fmamk_f16 v51, v51, 0xbcab, v81
	v_pack_b32_f16 v4, v4, v81
	v_sub_f16_e32 v81, v78, v6
	v_sub_f16_e32 v6, v79, v48
	;; [unrolled: 1-line block ×4, first 2 shown]
	s_delay_alu instid0(VALU_DEP_4) | instskip(NEXT) | instid1(VALU_DEP_4)
	v_mul_f16_e32 v81, 0x3a52, v81
	v_mul_f16_e32 v97, 0x3a52, v6
	s_delay_alu instid0(VALU_DEP_4) | instskip(NEXT) | instid1(VALU_DEP_3)
	v_mul_f16_e32 v11, 0x2b26, v48
	v_fmamk_f16 v6, v88, 0x2b26, v81
	s_delay_alu instid0(VALU_DEP_2) | instskip(NEXT) | instid1(VALU_DEP_2)
	v_fma_f16 v11, v52, 0x39e0, -v11
	v_add_f16_e32 v99, v6, v50
	v_fmamk_f16 v6, v48, 0x2b26, v97
	v_fma_f16 v48, v52, 0xb9e0, -v97
	v_fma_f16 v52, v8, 0xbb00, -v90
	v_mul_f16_e32 v8, 0x3b00, v8
	v_add_f16_e32 v11, v11, v51
	v_add_f16_e32 v105, v6, v51
	;; [unrolled: 1-line block ×4, first 2 shown]
	v_fmac_f16_e32 v8, 0x3574, v91
	v_fmac_f16_e32 v52, 0xb70e, v89
	v_sub_f16_e32 v7, v105, v110
	s_delay_alu instid0(VALU_DEP_3) | instskip(NEXT) | instid1(VALU_DEP_3)
	v_fmac_f16_e32 v8, 0xb70e, v89
	v_add_f16_e32 v51, v52, v11
	s_delay_alu instid0(VALU_DEP_3)
	v_pack_b32_f16 v111, v6, v7
	ds_load_2addr_b32 v[6:7], v124 offset0:8 offset1:204
	global_wb scope:SCOPE_SE
	s_wait_dscnt 0x0
	s_barrier_signal -1
	s_barrier_wait -1
	global_inv scope:SCOPE_SE
	ds_store_2addr_b32 v185, v4, v111 offset1:28
	v_sub_f16_e32 v4, v80, v78
	v_fma_f16 v78, v9, 0xbb00, -v93
	v_mul_f16_e32 v9, 0x3b00, v9
	v_sub_f16_e32 v11, v11, v52
	s_delay_alu instid0(VALU_DEP_4) | instskip(SKIP_1) | instid1(VALU_DEP_4)
	v_fma_f16 v10, v4, 0x39e0, -v10
	v_fma_f16 v4, v4, 0xb9e0, -v81
	v_fmac_f16_e32 v9, 0x3574, v49
	v_fmac_f16_e32 v78, 0xb70e, v96
	s_delay_alu instid0(VALU_DEP_4) | instskip(NEXT) | instid1(VALU_DEP_4)
	v_add_f16_e32 v10, v10, v50
	v_add_f16_e32 v4, v4, v50
	s_delay_alu instid0(VALU_DEP_4) | instskip(SKIP_3) | instid1(VALU_DEP_4)
	v_fmac_f16_e32 v9, 0xb70e, v96
	v_sub_f16_e32 v50, v48, v8
	v_add_f16_e32 v8, v8, v48
	v_lshrrev_b32_e32 v48, 16, v5
	v_add_f16_e32 v49, v9, v4
	v_sub_f16_e32 v4, v4, v9
	s_delay_alu instid0(VALU_DEP_2) | instskip(SKIP_2) | instid1(VALU_DEP_4)
	v_pack_b32_f16 v49, v49, v50
	v_sub_f16_e32 v50, v10, v78
	v_add_f16_e32 v10, v78, v10
	v_pack_b32_f16 v4, v4, v8
	v_add_f16_e32 v8, v110, v105
	s_delay_alu instid0(VALU_DEP_4) | instskip(NEXT) | instid1(VALU_DEP_4)
	v_pack_b32_f16 v50, v50, v51
	v_pack_b32_f16 v9, v10, v11
	v_add_f16_e32 v11, v37, v72
	v_sub_f16_e32 v10, v43, v83
	ds_store_2addr_b32 v185, v49, v50 offset0:56 offset1:84
	ds_store_2addr_b32 v185, v9, v4 offset0:112 offset1:140
	v_sub_f16_e32 v4, v99, v109
	v_add_f16_e32 v9, v43, v83
	v_add_f16_e32 v43, v38, v39
	v_sub_f16_e32 v38, v39, v38
	v_add_f16_e32 v39, v40, v41
	v_pack_b32_f16 v4, v4, v8
	v_sub_f16_e32 v8, v36, v73
	v_sub_f16_e32 v40, v41, v40
	s_delay_alu instid0(VALU_DEP_4)
	v_sub_f16_e32 v50, v9, v39
	ds_store_b32 v185, v4 offset:672
	v_add_f16_e32 v4, v36, v73
	v_sub_f16_e32 v36, v37, v72
	v_add_f16_e32 v37, v42, v82
	v_sub_f16_e32 v42, v42, v82
	v_mul_f16_e32 v50, 0x3a52, v50
	v_add_f16_e32 v41, v11, v4
	v_sub_f16_e32 v52, v38, v36
	v_add_f16_e32 v49, v37, v9
	v_sub_f16_e32 v73, v40, v42
	v_add_f16_e32 v51, v38, v36
	v_add_f16_e32 v41, v43, v41
	v_sub_f16_e32 v38, v8, v38
	v_add_f16_e32 v49, v39, v49
	v_sub_f16_e32 v39, v39, v37
	v_add_f16_e32 v72, v40, v42
	v_add_f16_e32 v5, v5, v41
	v_sub_f16_e32 v40, v10, v40
	v_add_f16_e32 v48, v48, v49
	v_mul_f16_e32 v52, 0x3846, v52
	v_mul_f16_e32 v73, 0x3846, v73
	v_fmamk_f16 v41, v41, 0xbcab, v5
	v_add_f16_e32 v51, v51, v8
	v_fmamk_f16 v49, v49, 0xbcab, v48
	v_pack_b32_f16 v5, v5, v48
	v_sub_f16_e32 v48, v4, v43
	v_sub_f16_e32 v43, v43, v11
	v_add_f16_e32 v72, v72, v10
	v_fmamk_f16 v79, v39, 0x2b26, v50
	v_fmamk_f16 v80, v40, 0xb574, v73
	v_mul_f16_e32 v48, 0x3a52, v48
	v_fmamk_f16 v81, v38, 0xb574, v52
	v_sub_f16_e32 v8, v36, v8
	v_add_f16_e32 v79, v79, v49
	v_fmac_f16_e32 v80, 0xb70e, v72
	v_fmamk_f16 v78, v43, 0x2b26, v48
	v_fmac_f16_e32 v81, 0xb70e, v51
	v_sub_f16_e32 v4, v11, v4
	v_mul_f16_e32 v11, 0x2b26, v39
	v_fma_f16 v36, v8, 0xbb00, -v52
	v_add_f16_e32 v78, v78, v41
	v_sub_f16_e32 v83, v79, v81
	v_mul_f16_e32 v8, 0x3b00, v8
	s_delay_alu instid0(VALU_DEP_4) | instskip(NEXT) | instid1(VALU_DEP_4)
	v_fmac_f16_e32 v36, 0xb70e, v51
	v_add_f16_e32 v82, v80, v78
	s_delay_alu instid0(VALU_DEP_3) | instskip(NEXT) | instid1(VALU_DEP_2)
	v_fmac_f16_e32 v8, 0x3574, v38
	v_pack_b32_f16 v82, v82, v83
	s_delay_alu instid0(VALU_DEP_2) | instskip(SKIP_4) | instid1(VALU_DEP_3)
	v_fmac_f16_e32 v8, 0xb70e, v51
	ds_store_2addr_b32 v196, v5, v82 offset1:28
	v_sub_f16_e32 v5, v37, v9
	v_sub_f16_e32 v9, v42, v10
	v_mul_f16_e32 v10, 0x2b26, v43
	v_fma_f16 v11, v5, 0x39e0, -v11
	s_delay_alu instid0(VALU_DEP_3) | instskip(SKIP_1) | instid1(VALU_DEP_4)
	v_fma_f16 v37, v9, 0xbb00, -v73
	v_mul_f16_e32 v9, 0x3b00, v9
	v_fma_f16 v10, v4, 0x39e0, -v10
	v_fma_f16 v4, v4, 0xb9e0, -v48
	;; [unrolled: 1-line block ×3, first 2 shown]
	v_add_f16_e32 v11, v11, v49
	v_fmac_f16_e32 v9, 0x3574, v40
	v_add_f16_e32 v10, v10, v41
	v_add_f16_e32 v4, v4, v41
	;; [unrolled: 1-line block ×3, first 2 shown]
	v_fmac_f16_e32 v37, 0xb70e, v72
	v_fmac_f16_e32 v9, 0xb70e, v72
	v_add_f16_e32 v40, v36, v11
	v_sub_f16_e32 v11, v11, v36
	v_sub_f16_e32 v39, v5, v8
	v_add_f16_e32 v5, v8, v5
	v_add_f16_e32 v38, v9, v4
	v_sub_f16_e32 v4, v4, v9
	v_sub_f16_e32 v9, v20, v46
	v_lshrrev_b32_e32 v36, 16, v6
	s_delay_alu instid0(VALU_DEP_4) | instskip(SKIP_4) | instid1(VALU_DEP_4)
	v_pack_b32_f16 v38, v38, v39
	v_sub_f16_e32 v39, v10, v37
	v_add_f16_e32 v10, v37, v10
	v_pack_b32_f16 v4, v4, v5
	v_add_f16_e32 v5, v81, v79
	v_pack_b32_f16 v39, v39, v40
	s_delay_alu instid0(VALU_DEP_4)
	v_pack_b32_f16 v8, v10, v11
	v_add_f16_e32 v10, v23, v45
	v_sub_f16_e32 v11, v23, v45
	v_sub_f16_e32 v23, v35, v33
	ds_store_2addr_b32 v196, v38, v39 offset0:56 offset1:84
	ds_store_2addr_b32 v196, v8, v4 offset0:112 offset1:140
	v_sub_f16_e32 v4, v78, v80
	v_add_f16_e32 v8, v20, v46
	v_add_f16_e32 v20, v22, v44
	v_sub_f16_e32 v39, v23, v11
	v_add_f16_e32 v38, v23, v11
	v_pack_b32_f16 v4, v4, v5
	v_sub_f16_e32 v5, v21, v47
	s_delay_alu instid0(VALU_DEP_4)
	v_mul_f16_e32 v39, 0x3846, v39
	ds_store_b32 v196, v4 offset:672
	v_add_f16_e32 v4, v21, v47
	v_sub_f16_e32 v21, v22, v44
	v_add_f16_e32 v22, v33, v35
	v_add_f16_e32 v33, v32, v34
	v_sub_f16_e32 v32, v34, v32
	v_add_f16_e32 v34, v10, v4
	v_add_f16_e32 v35, v20, v8
	v_sub_f16_e32 v23, v5, v23
	v_sub_f16_e32 v37, v8, v33
	;; [unrolled: 1-line block ×3, first 2 shown]
	v_add_f16_e32 v34, v22, v34
	v_add_f16_e32 v35, v33, v35
	v_sub_f16_e32 v33, v33, v20
	v_add_f16_e32 v40, v32, v21
	v_sub_f16_e32 v32, v9, v32
	v_add_f16_e32 v6, v6, v34
	v_add_f16_e32 v36, v36, v35
	v_mul_f16_e32 v37, 0x3a52, v37
	v_mul_f16_e32 v41, 0x3846, v41
	v_add_f16_e32 v38, v38, v5
	v_fmamk_f16 v34, v34, 0xbcab, v6
	v_fmamk_f16 v35, v35, 0xbcab, v36
	v_pack_b32_f16 v6, v6, v36
	v_sub_f16_e32 v36, v4, v22
	v_sub_f16_e32 v22, v22, v10
	v_add_f16_e32 v40, v40, v9
	v_fmamk_f16 v43, v33, 0x2b26, v37
	v_fmamk_f16 v44, v32, 0xb574, v41
	v_mul_f16_e32 v36, 0x3a52, v36
	v_fmamk_f16 v45, v23, 0xb574, v39
	v_sub_f16_e32 v5, v11, v5
	v_add_f16_e32 v43, v43, v35
	v_fmac_f16_e32 v44, 0xb70e, v40
	v_fmamk_f16 v42, v22, 0x2b26, v36
	v_fmac_f16_e32 v45, 0xb70e, v38
	v_sub_f16_e32 v4, v10, v4
	v_mul_f16_e32 v10, 0x2b26, v33
	v_fma_f16 v11, v5, 0xbb00, -v39
	v_add_f16_e32 v42, v42, v34
	v_sub_f16_e32 v47, v43, v45
	v_mul_f16_e32 v5, 0x3b00, v5
	s_delay_alu instid0(VALU_DEP_4) | instskip(NEXT) | instid1(VALU_DEP_4)
	v_fmac_f16_e32 v11, 0xb70e, v38
	v_add_f16_e32 v46, v44, v42
	s_delay_alu instid0(VALU_DEP_3) | instskip(NEXT) | instid1(VALU_DEP_2)
	v_fmac_f16_e32 v5, 0x3574, v23
	v_pack_b32_f16 v46, v46, v47
	s_delay_alu instid0(VALU_DEP_2) | instskip(SKIP_4) | instid1(VALU_DEP_3)
	v_fmac_f16_e32 v5, 0xb70e, v38
	ds_store_2addr_b32 v199, v6, v46 offset1:28
	v_sub_f16_e32 v6, v20, v8
	v_sub_f16_e32 v8, v21, v9
	v_mul_f16_e32 v9, 0x2b26, v22
	v_fma_f16 v10, v6, 0x39e0, -v10
	s_delay_alu instid0(VALU_DEP_3) | instskip(SKIP_1) | instid1(VALU_DEP_4)
	v_fma_f16 v20, v8, 0xbb00, -v41
	v_mul_f16_e32 v8, 0x3b00, v8
	v_fma_f16 v9, v4, 0x39e0, -v9
	v_fma_f16 v4, v4, 0xb9e0, -v36
	;; [unrolled: 1-line block ×3, first 2 shown]
	v_add_f16_e32 v10, v10, v35
	v_fmac_f16_e32 v8, 0x3574, v32
	v_add_f16_e32 v9, v9, v34
	v_add_f16_e32 v4, v4, v34
	;; [unrolled: 1-line block ×3, first 2 shown]
	v_fmac_f16_e32 v20, 0xb70e, v40
	v_fmac_f16_e32 v8, 0xb70e, v40
	v_add_f16_e32 v23, v11, v10
	v_sub_f16_e32 v10, v10, v11
	v_sub_f16_e32 v22, v6, v5
	v_add_f16_e32 v5, v5, v6
	v_add_f16_e32 v21, v8, v4
	v_sub_f16_e32 v4, v4, v8
	v_add_f16_e32 v8, v1, v14
	v_add_f16_e32 v11, v2, v3
	v_sub_f16_e32 v2, v3, v2
	v_pack_b32_f16 v21, v21, v22
	v_sub_f16_e32 v22, v9, v20
	v_add_f16_e32 v9, v20, v9
	v_pack_b32_f16 v4, v4, v5
	v_add_f16_e32 v5, v45, v43
	v_add_f16_e32 v3, v12, v13
	v_sub_f16_e32 v12, v13, v12
	v_pack_b32_f16 v6, v9, v10
	v_add_f16_e32 v9, v16, v15
	v_sub_f16_e32 v10, v16, v15
	v_sub_f16_e32 v1, v1, v14
	v_lshrrev_b32_e32 v14, 16, v7
	ds_store_2addr_b32 v199, v6, v4 offset0:112 offset1:140
	v_sub_f16_e32 v4, v42, v44
	v_sub_f16_e32 v6, v17, v19
	;; [unrolled: 1-line block ×3, first 2 shown]
	v_pack_b32_f16 v22, v22, v23
	s_delay_alu instid0(VALU_DEP_4)
	v_pack_b32_f16 v4, v4, v5
	v_add_f16_e32 v5, v17, v19
	v_add_f16_e32 v17, v2, v1
	;; [unrolled: 1-line block ×3, first 2 shown]
	v_sub_f16_e32 v12, v6, v12
	ds_store_b32 v199, v4 offset:672
	v_add_f16_e32 v4, v0, v18
	v_add_f16_e32 v15, v9, v5
	v_sub_f16_e32 v0, v0, v18
	v_sub_f16_e32 v16, v5, v3
	;; [unrolled: 1-line block ×3, first 2 shown]
	v_add_f16_e32 v13, v8, v4
	v_add_f16_e32 v15, v3, v15
	v_sub_f16_e32 v3, v3, v9
	v_sub_f16_e32 v2, v0, v2
	v_mul_f16_e32 v16, 0x3a52, v16
	v_add_f16_e32 v13, v11, v13
	v_add_f16_e32 v14, v14, v15
	v_mul_f16_e32 v18, 0x3846, v18
	v_mul_f16_e32 v20, 0x3846, v20
	ds_store_2addr_b32 v199, v21, v22 offset0:56 offset1:84
	v_add_f16_e32 v7, v7, v13
	v_fmamk_f16 v15, v15, 0xbcab, v14
	v_add_f16_e32 v17, v17, v0
	v_add_f16_e32 v19, v19, v6
	v_fmamk_f16 v22, v3, 0x2b26, v16
	v_fmamk_f16 v13, v13, 0xbcab, v7
	v_pack_b32_f16 v7, v7, v14
	v_sub_f16_e32 v14, v4, v11
	v_sub_f16_e32 v11, v11, v8
	v_fmamk_f16 v23, v12, 0xb574, v20
	v_fmamk_f16 v32, v2, 0xb574, v18
	v_add_f16_e32 v22, v22, v15
	v_mul_f16_e32 v14, 0x3a52, v14
	v_sub_f16_e32 v0, v1, v0
	v_fmac_f16_e32 v23, 0xb70e, v19
	v_fmac_f16_e32 v32, 0xb70e, v17
	v_sub_f16_e32 v1, v10, v6
	v_fmamk_f16 v21, v11, 0x2b26, v14
	v_sub_f16_e32 v4, v8, v4
	v_sub_f16_e32 v5, v9, v5
	;; [unrolled: 1-line block ×3, first 2 shown]
	v_mul_f16_e32 v6, 0x2b26, v11
	v_add_f16_e32 v21, v21, v13
	v_mul_f16_e32 v3, 0x2b26, v3
	s_delay_alu instid0(VALU_DEP_3) | instskip(NEXT) | instid1(VALU_DEP_3)
	v_fma_f16 v6, v4, 0x39e0, -v6
	v_add_f16_e32 v33, v23, v21
	v_fma_f16 v4, v4, 0xb9e0, -v14
	s_delay_alu instid0(VALU_DEP_4)
	v_fma_f16 v3, v5, 0x39e0, -v3
	v_fma_f16 v5, v5, 0xb9e0, -v16
	v_add_f16_e32 v6, v6, v13
	v_pack_b32_f16 v33, v33, v34
	v_add_f16_e32 v4, v4, v13
	v_add_f16_e32 v3, v3, v15
	;; [unrolled: 1-line block ×3, first 2 shown]
	ds_store_2addr_b32 v201, v7, v33 offset1:28
	v_fma_f16 v7, v0, 0xbb00, -v18
	v_mul_f16_e32 v0, 0x3b00, v0
	s_delay_alu instid0(VALU_DEP_2) | instskip(NEXT) | instid1(VALU_DEP_2)
	v_fmac_f16_e32 v7, 0xb70e, v17
	v_fmac_f16_e32 v0, 0x3574, v2
	v_fma_f16 v2, v1, 0xbb00, -v20
	v_mul_f16_e32 v1, 0x3b00, v1
	s_delay_alu instid0(VALU_DEP_4) | instskip(NEXT) | instid1(VALU_DEP_4)
	v_add_f16_e32 v10, v7, v3
	v_fmac_f16_e32 v0, 0xb70e, v17
	s_delay_alu instid0(VALU_DEP_4) | instskip(NEXT) | instid1(VALU_DEP_4)
	v_fmac_f16_e32 v2, 0xb70e, v19
	v_fmac_f16_e32 v1, 0x3574, v12
	v_sub_f16_e32 v3, v3, v7
	s_delay_alu instid0(VALU_DEP_4) | instskip(SKIP_1) | instid1(VALU_DEP_4)
	v_sub_f16_e32 v9, v5, v0
	v_add_f16_e32 v0, v0, v5
	v_fmac_f16_e32 v1, 0xb70e, v19
	s_delay_alu instid0(VALU_DEP_1) | instskip(SKIP_1) | instid1(VALU_DEP_2)
	v_add_f16_e32 v8, v1, v4
	v_sub_f16_e32 v1, v4, v1
	v_pack_b32_f16 v8, v8, v9
	v_sub_f16_e32 v9, v6, v2
	v_add_f16_e32 v2, v2, v6
	s_delay_alu instid0(VALU_DEP_4) | instskip(SKIP_1) | instid1(VALU_DEP_4)
	v_pack_b32_f16 v0, v1, v0
	v_add_f16_e32 v1, v32, v22
	v_pack_b32_f16 v9, v9, v10
	s_delay_alu instid0(VALU_DEP_4) | instskip(SKIP_3) | instid1(VALU_DEP_1)
	v_pack_b32_f16 v2, v2, v3
	ds_store_2addr_b32 v201, v8, v9 offset0:56 offset1:84
	ds_store_2addr_b32 v201, v2, v0 offset0:112 offset1:140
	v_sub_f16_e32 v0, v21, v23
	v_pack_b32_f16 v0, v0, v1
	ds_store_b32 v201, v0 offset:672
	global_wb scope:SCOPE_SE
	s_wait_dscnt 0x0
	s_barrier_signal -1
	s_barrier_wait -1
	global_inv scope:SCOPE_SE
	ds_load_2addr_b32 v[0:1], v161 offset0:32 offset1:228
	s_wait_dscnt 0x0
	v_lshrrev_b32_e32 v2, 16, v1
	v_mul_f16_e64 v3, v239, v1
	v_lshrrev_b32_e32 v52, 16, v0
	s_delay_alu instid0(VALU_DEP_3) | instskip(NEXT) | instid1(VALU_DEP_3)
	v_mul_f16_e64 v7, v239, v2
	v_fma_f16 v8, v62, v2, -v3
	ds_load_2addr_b32 v[2:3], v158 offset1:196
	v_fmac_f16_e32 v7, v62, v1
	s_wait_dscnt 0x0
	v_lshrrev_b32_e32 v4, 16, v2
	v_mul_f16_e64 v5, v240, v2
	s_delay_alu instid0(VALU_DEP_2) | instskip(NEXT) | instid1(VALU_DEP_2)
	v_mul_f16_e64 v9, v240, v4
	v_fma_f16 v10, v63, v4, -v5
	ds_load_2addr_b32 v[4:5], v194 offset0:24 offset1:220
	v_fmac_f16_e32 v9, v63, v2
	ds_load_2addr_b32 v[1:2], v127 offset0:40 offset1:236
	s_wait_dscnt 0x1
	v_lshrrev_b32_e32 v6, 16, v5
	v_mul_f16_e64 v11, v238, v5
	v_lshrrev_b32_e32 v50, 16, v4
	s_wait_dscnt 0x0
	v_mul_f16_e64 v14, v248, v1
	v_mul_f16_e64 v12, v238, v6
	v_fma_f16 v11, v64, v6, -v11
	v_lshrrev_b32_e32 v6, 16, v1
	v_mul_f16_e64 v51, v226, v50
	s_delay_alu instid0(VALU_DEP_4) | instskip(SKIP_1) | instid1(VALU_DEP_4)
	v_fmac_f16_e32 v12, v64, v5
	v_lshrrev_b32_e32 v5, 16, v3
	v_mul_f16_e64 v15, v248, v6
	v_fma_f16 v14, v68, v6, -v14
	v_fmac_f16_e32 v51, v55, v4
	v_mul_f16_e64 v4, v226, v4
	v_mul_f16_e64 v13, v246, v5
	v_fmac_f16_e32 v15, v68, v1
	v_lshrrev_b32_e32 v1, 16, v2
	v_sub_f16_e32 v11, v8, v11
	v_fma_f16 v50, v55, v50, -v4
	v_fmac_f16_e32 v13, v69, v3
	v_mul_f16_e64 v3, v246, v3
	v_mul_f16_e64 v19, v252, v1
	v_fma_f16 v8, v8, 2.0, -v11
	s_delay_alu instid0(VALU_DEP_3) | instskip(SKIP_3) | instid1(VALU_DEP_1)
	v_fma_f16 v16, v69, v5, -v3
	ds_load_2addr_b32 v[5:6], v150 offset0:32 offset1:228
	v_fmac_f16_e32 v19, v65, v2
	v_mul_f16_e64 v2, v252, v2
	v_fma_f16 v21, v65, v1, -v2
	ds_load_2addr_b32 v[1:2], v197 offset0:8 offset1:204
	s_wait_dscnt 0x1
	v_lshrrev_b32_e32 v3, 16, v5
	v_mul_f16_e64 v17, v247, v5
	s_delay_alu instid0(VALU_DEP_2) | instskip(NEXT) | instid1(VALU_DEP_2)
	v_mul_f16_e64 v18, v247, v3
	v_fma_f16 v17, v70, v3, -v17
	v_lshrrev_b32_e32 v3, 16, v6
	s_wait_dscnt 0x0
	v_mul_f16_e64 v22, v251, v1
	v_fmac_f16_e32 v18, v70, v5
	v_mul_f16_e64 v5, v250, v6
	v_mul_f16_e64 v20, v250, v3
	s_delay_alu instid0(VALU_DEP_2) | instskip(NEXT) | instid1(VALU_DEP_2)
	v_fma_f16 v32, v67, v3, -v5
	v_fmac_f16_e32 v20, v67, v6
	v_lshrrev_b32_e32 v6, 16, v1
	v_lshrrev_b32_e32 v3, 16, v2
	v_mul_f16_e64 v5, v253, v2
	s_delay_alu instid0(VALU_DEP_3) | instskip(NEXT) | instid1(VALU_DEP_3)
	v_mul_f16_e64 v23, v251, v6
	v_mul_f16_e64 v33, v253, v3
	v_fma_f16 v22, v66, v6, -v22
	s_delay_alu instid0(VALU_DEP_4) | instskip(NEXT) | instid1(VALU_DEP_4)
	v_fma_f16 v36, v60, v3, -v5
	v_fmac_f16_e32 v23, v66, v1
	s_delay_alu instid0(VALU_DEP_4) | instskip(SKIP_4) | instid1(VALU_DEP_2)
	v_fmac_f16_e32 v33, v60, v2
	ds_load_2addr_b32 v[1:2], v160 offset0:48 offset1:244
	s_wait_dscnt 0x0
	v_lshrrev_b32_e32 v6, 16, v1
	v_mul_f16_e64 v34, v255, v1
	v_mul_f16_e64 v35, v255, v6
	s_delay_alu instid0(VALU_DEP_2) | instskip(SKIP_3) | instid1(VALU_DEP_1)
	v_fma_f16 v34, v59, v6, -v34
	ds_load_2addr_b32 v[5:6], v116 offset0:40 offset1:236
	v_fmac_f16_e32 v35, v59, v1
	v_lshrrev_b32_e32 v1, 16, v2
	v_mul_f16_e32 v39, v98, v1
	s_delay_alu instid0(VALU_DEP_1) | instskip(SKIP_1) | instid1(VALU_DEP_1)
	v_fmac_f16_e32 v39, v56, v2
	v_mul_f16_e32 v2, v98, v2
	v_fma_f16 v41, v56, v1, -v2
	ds_load_2addr_b32 v[1:2], v155 offset0:16 offset1:212
	s_wait_dscnt 0x1
	v_lshrrev_b32_e32 v3, 16, v5
	v_mul_f16_e64 v37, v254, v5
	v_mul_f16_e64 v56, v225, v52
	s_delay_alu instid0(VALU_DEP_3) | instskip(NEXT) | instid1(VALU_DEP_3)
	v_mul_f16_e64 v38, v254, v3
	v_fma_f16 v37, v61, v3, -v37
	v_lshrrev_b32_e32 v3, 16, v6
	s_delay_alu instid0(VALU_DEP_4) | instskip(NEXT) | instid1(VALU_DEP_4)
	v_fmac_f16_e32 v56, v53, v0
	v_fmac_f16_e32 v38, v61, v5
	v_mul_f16_e32 v5, v94, v6
	s_delay_alu instid0(VALU_DEP_4) | instskip(NEXT) | instid1(VALU_DEP_2)
	v_mul_f16_e32 v40, v94, v3
	v_fma_f16 v44, v58, v3, -v5
	s_delay_alu instid0(VALU_DEP_2) | instskip(SKIP_4) | instid1(VALU_DEP_3)
	v_fmac_f16_e32 v40, v58, v6
	s_wait_dscnt 0x0
	v_lshrrev_b32_e32 v6, 16, v1
	v_mul_f16_e32 v42, v71, v1
	v_lshrrev_b32_e32 v48, 16, v2
	v_mul_f16_e32 v43, v71, v6
	s_delay_alu instid0(VALU_DEP_3)
	v_fma_f16 v42, v57, v6, -v42
	ds_load_2addr_b32 v[5:6], v138 offset0:56 offset1:252
	v_mul_f16_e64 v49, v226, v48
	v_fmac_f16_e32 v43, v57, v1
	v_mul_f16_e64 v57, v225, v0
	ds_load_2addr_b32 v[0:1], v128 offset0:24 offset1:220
	v_fmac_f16_e32 v49, v55, v2
	v_mul_f16_e64 v2, v226, v2
	s_wait_dscnt 0x1
	v_lshrrev_b32_e32 v3, 16, v5
	v_lshrrev_b32_e32 v46, 16, v6
	s_delay_alu instid0(VALU_DEP_2)
	v_mul_f16_e64 v45, v227, v3
	s_wait_dscnt 0x0
	v_lshrrev_b32_e32 v58, 16, v1
	v_mul_f16_e64 v59, v225, v1
	v_mul_f16_e64 v47, v227, v46
	v_fmac_f16_e32 v45, v54, v5
	v_mul_f16_e64 v5, v227, v5
	v_mul_f16_e64 v60, v225, v58
	s_delay_alu instid0(VALU_DEP_4)
	v_fmac_f16_e32 v47, v54, v6
	v_mul_f16_e64 v6, v227, v6
	v_fma_f16 v58, v53, v58, -v59
	v_fma_f16 v3, v54, v3, -v5
	;; [unrolled: 1-line block ×3, first 2 shown]
	v_fmac_f16_e32 v60, v53, v1
	ds_load_2addr_b32 v[1:2], v154 offset1:196
	v_fma_f16 v46, v54, v46, -v6
	v_fma_f16 v48, v53, v52, -v57
	v_sub_f16_e32 v5, v58, v5
	v_sub_f16_e32 v6, v60, v49
	s_delay_alu instid0(VALU_DEP_2) | instskip(NEXT) | instid1(VALU_DEP_2)
	v_fma_f16 v52, v58, 2.0, -v5
	v_fma_f16 v49, v60, 2.0, -v6
	s_wait_dscnt 0x0
	v_lshrrev_b32_e32 v4, 16, v1
	v_sub_f16_e32 v45, v1, v45
	s_delay_alu instid0(VALU_DEP_2) | instskip(NEXT) | instid1(VALU_DEP_2)
	v_sub_f16_e32 v3, v4, v3
	v_fma_f16 v1, v1, 2.0, -v45
	v_add_f16_e32 v53, v45, v5
	s_delay_alu instid0(VALU_DEP_3) | instskip(NEXT) | instid1(VALU_DEP_3)
	v_fma_f16 v4, v4, 2.0, -v3
	v_sub_f16_e32 v49, v1, v49
	v_sub_f16_e32 v54, v3, v6
	s_delay_alu instid0(VALU_DEP_3) | instskip(NEXT) | instid1(VALU_DEP_3)
	v_sub_f16_e32 v52, v4, v52
	v_fma_f16 v1, v1, 2.0, -v49
	s_delay_alu instid0(VALU_DEP_3) | instskip(NEXT) | instid1(VALU_DEP_3)
	v_fma_f16 v3, v3, 2.0, -v54
	v_fma_f16 v4, v4, 2.0, -v52
	s_delay_alu instid0(VALU_DEP_1) | instskip(SKIP_1) | instid1(VALU_DEP_1)
	v_pack_b32_f16 v1, v1, v4
	v_fma_f16 v4, v45, 2.0, -v53
	v_pack_b32_f16 v45, v4, v3
	ds_load_2addr_b32 v[3:4], v124 offset0:8 offset1:204
	ds_load_2addr_b32 v[5:6], v162 offset0:16 offset1:212
	global_wb scope:SCOPE_SE
	s_wait_dscnt 0x0
	s_barrier_signal -1
	s_barrier_wait -1
	global_inv scope:SCOPE_SE
	ds_store_2addr_b32 v154, v1, v45 offset1:196
	v_pack_b32_f16 v1, v49, v52
	v_pack_b32_f16 v45, v53, v54
	v_sub_f16_e32 v49, v48, v50
	ds_store_2addr_b32 v124, v1, v45 offset0:8 offset1:204
	v_lshrrev_b32_e32 v45, 16, v2
	v_sub_f16_e32 v1, v2, v47
	v_sub_f16_e32 v47, v56, v51
	v_fma_f16 v48, v48, 2.0, -v49
	s_delay_alu instid0(VALU_DEP_4) | instskip(NEXT) | instid1(VALU_DEP_4)
	v_sub_f16_e32 v46, v45, v46
	v_fma_f16 v2, v2, 2.0, -v1
	s_delay_alu instid0(VALU_DEP_4) | instskip(SKIP_1) | instid1(VALU_DEP_4)
	v_fma_f16 v50, v56, 2.0, -v47
	v_sub_f16_e32 v9, v3, v9
	v_fma_f16 v45, v45, 2.0, -v46
	v_sub_f16_e32 v47, v46, v47
	s_delay_alu instid0(VALU_DEP_4) | instskip(NEXT) | instid1(VALU_DEP_3)
	v_sub_f16_e32 v50, v2, v50
	v_sub_f16_e32 v48, v45, v48
	s_delay_alu instid0(VALU_DEP_3) | instskip(NEXT) | instid1(VALU_DEP_3)
	v_fma_f16 v46, v46, 2.0, -v47
	v_fma_f16 v2, v2, 2.0, -v50
	s_delay_alu instid0(VALU_DEP_3) | instskip(NEXT) | instid1(VALU_DEP_1)
	v_fma_f16 v45, v45, 2.0, -v48
	v_pack_b32_f16 v2, v2, v45
	v_add_f16_e32 v45, v1, v49
	s_delay_alu instid0(VALU_DEP_1) | instskip(NEXT) | instid1(VALU_DEP_1)
	v_fma_f16 v1, v1, 2.0, -v45
	v_pack_b32_f16 v1, v1, v46
	ds_store_2addr_b32 v162, v2, v1 offset0:16 offset1:212
	v_pack_b32_f16 v1, v50, v48
	v_pack_b32_f16 v2, v45, v47
	ds_store_2addr_b32 v128, v1, v2 offset0:24 offset1:220
	v_lshrrev_b32_e32 v1, 16, v3
	v_fma_f16 v3, v3, 2.0, -v9
	s_delay_alu instid0(VALU_DEP_2) | instskip(SKIP_1) | instid1(VALU_DEP_2)
	v_sub_f16_e32 v2, v1, v10
	v_sub_f16_e32 v10, v7, v12
	v_fma_f16 v1, v1, 2.0, -v2
	s_delay_alu instid0(VALU_DEP_2) | instskip(SKIP_1) | instid1(VALU_DEP_3)
	v_fma_f16 v7, v7, 2.0, -v10
	v_sub_f16_e32 v10, v2, v10
	v_sub_f16_e32 v8, v1, v8
	s_delay_alu instid0(VALU_DEP_3) | instskip(NEXT) | instid1(VALU_DEP_3)
	v_sub_f16_e32 v7, v3, v7
	v_fma_f16 v2, v2, 2.0, -v10
	s_delay_alu instid0(VALU_DEP_3) | instskip(NEXT) | instid1(VALU_DEP_3)
	v_fma_f16 v1, v1, 2.0, -v8
	v_fma_f16 v3, v3, 2.0, -v7
	s_delay_alu instid0(VALU_DEP_1) | instskip(SKIP_1) | instid1(VALU_DEP_1)
	v_pack_b32_f16 v1, v3, v1
	v_add_f16_e32 v3, v9, v11
	v_fma_f16 v9, v9, 2.0, -v3
	s_delay_alu instid0(VALU_DEP_1)
	v_pack_b32_f16 v2, v9, v2
	scratch_load_b32 v9, off, off offset:188 th:TH_LOAD_LU ; 4-byte Folded Reload
	s_wait_loadcnt 0x0
	ds_store_2addr_b32 v9, v1, v2 offset0:32 offset1:228
	v_pack_b32_f16 v2, v3, v10
	scratch_load_b32 v3, off, off offset:160 th:TH_LOAD_LU ; 4-byte Folded Reload
	v_pack_b32_f16 v1, v7, v8
	v_sub_f16_e32 v7, v15, v18
	v_sub_f16_e32 v8, v14, v17
	s_delay_alu instid0(VALU_DEP_2) | instskip(NEXT) | instid1(VALU_DEP_2)
	v_fma_f16 v9, v15, 2.0, -v7
	v_fma_f16 v10, v14, 2.0, -v8
	s_wait_loadcnt 0x0
	ds_store_2addr_b32 v3, v1, v2 offset0:40 offset1:236
	v_sub_f16_e32 v1, v4, v13
	v_lshrrev_b32_e32 v2, 16, v4
	s_delay_alu instid0(VALU_DEP_2) | instskip(NEXT) | instid1(VALU_DEP_2)
	v_fma_f16 v3, v4, 2.0, -v1
	v_sub_f16_e32 v4, v2, v16
	s_delay_alu instid0(VALU_DEP_2) | instskip(NEXT) | instid1(VALU_DEP_2)
	v_sub_f16_e32 v9, v3, v9
	v_fma_f16 v2, v2, 2.0, -v4
	v_sub_f16_e32 v7, v4, v7
	s_delay_alu instid0(VALU_DEP_3) | instskip(NEXT) | instid1(VALU_DEP_3)
	v_fma_f16 v3, v3, 2.0, -v9
	v_sub_f16_e32 v10, v2, v10
	s_delay_alu instid0(VALU_DEP_3) | instskip(NEXT) | instid1(VALU_DEP_2)
	v_fma_f16 v4, v4, 2.0, -v7
	v_fma_f16 v2, v2, 2.0, -v10
	s_delay_alu instid0(VALU_DEP_1) | instskip(SKIP_1) | instid1(VALU_DEP_1)
	v_pack_b32_f16 v2, v3, v2
	v_add_f16_e32 v3, v1, v8
	v_fma_f16 v1, v1, 2.0, -v3
	s_delay_alu instid0(VALU_DEP_1)
	v_pack_b32_f16 v1, v1, v4
	scratch_load_b32 v4, off, off offset:164 th:TH_LOAD_LU ; 4-byte Folded Reload
	s_wait_loadcnt 0x0
	ds_store_2addr_b32 v4, v2, v1 offset0:48 offset1:244
	v_pack_b32_f16 v2, v3, v7
	scratch_load_b32 v3, off, off offset:168 th:TH_LOAD_LU ; 4-byte Folded Reload
	v_pack_b32_f16 v1, v9, v10
	v_sub_f16_e32 v4, v21, v32
	v_sub_f16_e32 v7, v5, v23
	s_delay_alu instid0(VALU_DEP_2) | instskip(NEXT) | instid1(VALU_DEP_2)
	v_fma_f16 v9, v21, 2.0, -v4
	v_add_f16_e32 v4, v7, v4
	s_wait_loadcnt 0x0
	ds_store_2addr_b32 v3, v1, v2 offset0:56 offset1:252
	v_lshrrev_b32_e32 v1, 16, v5
	v_sub_f16_e32 v3, v19, v20
	v_fma_f16 v5, v5, 2.0, -v7
	s_delay_alu instid0(VALU_DEP_3) | instskip(NEXT) | instid1(VALU_DEP_3)
	v_sub_f16_e32 v2, v1, v22
	v_fma_f16 v8, v19, 2.0, -v3
	s_delay_alu instid0(VALU_DEP_2) | instskip(NEXT) | instid1(VALU_DEP_2)
	v_fma_f16 v1, v1, 2.0, -v2
	v_sub_f16_e32 v8, v5, v8
	v_sub_f16_e32 v3, v2, v3
	s_delay_alu instid0(VALU_DEP_3) | instskip(NEXT) | instid1(VALU_DEP_3)
	v_sub_f16_e32 v9, v1, v9
	v_fma_f16 v5, v5, 2.0, -v8
	s_delay_alu instid0(VALU_DEP_3) | instskip(NEXT) | instid1(VALU_DEP_3)
	v_fma_f16 v2, v2, 2.0, -v3
	v_fma_f16 v1, v1, 2.0, -v9
	s_delay_alu instid0(VALU_DEP_1) | instskip(SKIP_1) | instid1(VALU_DEP_1)
	v_pack_b32_f16 v1, v5, v1
	v_fma_f16 v5, v7, 2.0, -v4
	v_pack_b32_f16 v2, v5, v2
	scratch_load_b32 v5, off, off offset:176 th:TH_LOAD_LU ; 4-byte Folded Reload
	s_wait_loadcnt 0x0
	ds_store_2addr_b32 v5, v1, v2 offset1:196
	v_pack_b32_f16 v2, v4, v3
	scratch_load_b32 v3, off, off offset:172 th:TH_LOAD_LU ; 4-byte Folded Reload
	v_pack_b32_f16 v1, v8, v9
	v_sub_f16_e32 v5, v35, v38
	s_delay_alu instid0(VALU_DEP_1) | instskip(SKIP_4) | instid1(VALU_DEP_2)
	v_fma_f16 v7, v35, 2.0, -v5
	s_wait_loadcnt 0x0
	ds_store_2addr_b32 v3, v1, v2 offset0:8 offset1:204
	v_sub_f16_e32 v1, v6, v33
	v_lshrrev_b32_e32 v2, 16, v6
	v_fma_f16 v3, v6, 2.0, -v1
	s_delay_alu instid0(VALU_DEP_2) | instskip(SKIP_1) | instid1(VALU_DEP_3)
	v_sub_f16_e32 v4, v2, v36
	v_sub_f16_e32 v6, v34, v37
	;; [unrolled: 1-line block ×3, first 2 shown]
	s_delay_alu instid0(VALU_DEP_3) | instskip(NEXT) | instid1(VALU_DEP_3)
	v_fma_f16 v2, v2, 2.0, -v4
	v_fma_f16 v8, v34, 2.0, -v6
	v_sub_f16_e32 v5, v4, v5
	s_delay_alu instid0(VALU_DEP_4) | instskip(NEXT) | instid1(VALU_DEP_3)
	v_fma_f16 v3, v3, 2.0, -v7
	v_sub_f16_e32 v8, v2, v8
	s_delay_alu instid0(VALU_DEP_3) | instskip(NEXT) | instid1(VALU_DEP_2)
	v_fma_f16 v4, v4, 2.0, -v5
	v_fma_f16 v2, v2, 2.0, -v8
	s_delay_alu instid0(VALU_DEP_1) | instskip(SKIP_1) | instid1(VALU_DEP_1)
	v_pack_b32_f16 v2, v3, v2
	v_add_f16_e32 v3, v1, v6
	v_fma_f16 v1, v1, 2.0, -v3
	s_delay_alu instid0(VALU_DEP_1)
	v_pack_b32_f16 v1, v1, v4
	scratch_load_b32 v4, off, off offset:180 th:TH_LOAD_LU ; 4-byte Folded Reload
	s_wait_loadcnt 0x0
	ds_store_2addr_b32 v4, v2, v1 offset0:16 offset1:212
	v_pack_b32_f16 v2, v3, v5
	scratch_load_b32 v3, off, off offset:184 th:TH_LOAD_LU ; 4-byte Folded Reload
	v_pack_b32_f16 v1, v7, v8
	v_sub_f16_e32 v4, v39, v40
	v_sub_f16_e32 v5, v41, v44
	s_delay_alu instid0(VALU_DEP_2) | instskip(NEXT) | instid1(VALU_DEP_2)
	v_fma_f16 v6, v39, 2.0, -v4
	v_fma_f16 v7, v41, 2.0, -v5
	s_wait_loadcnt 0x0
	ds_store_2addr_b32 v3, v1, v2 offset0:24 offset1:220
	v_lshrrev_b32_e32 v2, 16, v0
	v_sub_f16_e32 v1, v0, v43
	s_delay_alu instid0(VALU_DEP_2) | instskip(NEXT) | instid1(VALU_DEP_2)
	v_sub_f16_e32 v3, v2, v42
	v_fma_f16 v0, v0, 2.0, -v1
	s_delay_alu instid0(VALU_DEP_2) | instskip(NEXT) | instid1(VALU_DEP_2)
	v_fma_f16 v2, v2, 2.0, -v3
	v_sub_f16_e32 v6, v0, v6
	v_sub_f16_e32 v4, v3, v4
	s_delay_alu instid0(VALU_DEP_3) | instskip(NEXT) | instid1(VALU_DEP_3)
	v_sub_f16_e32 v7, v2, v7
	v_fma_f16 v0, v0, 2.0, -v6
	s_delay_alu instid0(VALU_DEP_3) | instskip(NEXT) | instid1(VALU_DEP_3)
	v_fma_f16 v3, v3, 2.0, -v4
	v_fma_f16 v2, v2, 2.0, -v7
	s_delay_alu instid0(VALU_DEP_1) | instskip(SKIP_1) | instid1(VALU_DEP_1)
	v_pack_b32_f16 v0, v0, v2
	v_add_f16_e32 v2, v1, v5
	v_fma_f16 v1, v1, 2.0, -v2
	s_delay_alu instid0(VALU_DEP_1)
	v_pack_b32_f16 v1, v1, v3
	scratch_load_b32 v3, off, off offset:192 th:TH_LOAD_LU ; 4-byte Folded Reload
	s_wait_loadcnt 0x0
	ds_store_2addr_b32 v3, v0, v1 offset0:32 offset1:228
	v_pack_b32_f16 v1, v2, v4
	scratch_load_b32 v2, off, off offset:196 th:TH_LOAD_LU ; 4-byte Folded Reload
	v_pack_b32_f16 v0, v6, v7
	s_wait_loadcnt 0x0
	ds_store_2addr_b32 v2, v0, v1 offset0:40 offset1:236
	global_wb scope:SCOPE_SE
	s_wait_dscnt 0x0
	s_barrier_signal -1
	s_barrier_wait -1
	global_inv scope:SCOPE_SE
	ds_load_2addr_b32 v[0:1], v162 offset0:16 offset1:212
	s_wait_dscnt 0x0
	v_lshrrev_b32_e32 v2, 16, v0
	v_mul_f16_e32 v3, v108, v0
	s_delay_alu instid0(VALU_DEP_2) | instskip(NEXT) | instid1(VALU_DEP_2)
	v_mul_f16_e32 v38, v108, v2
	v_fma_f16 v39, v232, v2, -v3
	ds_load_2addr_b32 v[2:3], v161 offset0:32 offset1:228
	v_fmac_f16_e64 v38, v232, v0
	v_lshrrev_b32_e32 v0, 16, v1
	s_delay_alu instid0(VALU_DEP_1) | instskip(NEXT) | instid1(VALU_DEP_1)
	v_mul_f16_e32 v14, v118, v0
	v_fmac_f16_e64 v14, v228, v1
	v_mul_f16_e32 v1, v118, v1
	s_wait_dscnt 0x0
	v_lshrrev_b32_e32 v4, 16, v2
	v_mul_f16_e32 v5, v101, v2
	s_delay_alu instid0(VALU_DEP_3)
	v_fma_f16 v18, v228, v0, -v1
	ds_load_2addr_b32 v[0:1], v128 offset0:24 offset1:220
	v_mul_f16_e32 v40, v101, v4
	v_fma_f16 v41, v233, v4, -v5
	ds_load_2addr_b32 v[4:5], v160 offset0:48 offset1:244
	v_fmac_f16_e64 v40, v233, v2
	v_lshrrev_b32_e32 v2, 16, v3
	s_delay_alu instid0(VALU_DEP_1) | instskip(NEXT) | instid1(VALU_DEP_1)
	v_mul_f16_e32 v15, v112, v2
	v_fmac_f16_e64 v15, v229, v3
	v_mul_f16_e32 v3, v112, v3
	s_wait_dscnt 0x0
	v_lshrrev_b32_e32 v6, 16, v4
	v_mul_f16_e32 v7, v107, v4
	s_delay_alu instid0(VALU_DEP_3)
	v_fma_f16 v19, v229, v2, -v3
	v_lshrrev_b32_e32 v2, 16, v0
	v_mul_f16_e64 v3, v167, v0
	v_mul_f16_e32 v42, v107, v6
	v_fma_f16 v43, v234, v6, -v7
	ds_load_2addr_b32 v[6:7], v158 offset1:196
	v_mul_f16_e64 v22, v167, v2
	v_fma_f16 v23, v24, v2, -v3
	v_fmac_f16_e64 v42, v234, v4
	v_lshrrev_b32_e32 v4, 16, v5
	s_delay_alu instid0(VALU_DEP_4) | instskip(SKIP_1) | instid1(VALU_DEP_3)
	v_fmac_f16_e32 v22, v24, v0
	v_lshrrev_b32_e32 v0, 16, v1
	v_mul_f16_e32 v16, v104, v4
	s_delay_alu instid0(VALU_DEP_1) | instskip(SKIP_1) | instid1(VALU_DEP_1)
	v_fmac_f16_e64 v16, v230, v5
	v_mul_f16_e32 v5, v104, v5
	v_fma_f16 v20, v230, v4, -v5
	ds_load_2addr_b32 v[3:4], v127 offset0:40 offset1:236
	s_wait_dscnt 0x1
	v_lshrrev_b32_e32 v8, 16, v6
	v_mul_f16_e32 v9, v100, v6
	s_delay_alu instid0(VALU_DEP_2) | instskip(NEXT) | instid1(VALU_DEP_2)
	v_mul_f16_e32 v44, v100, v8
	v_fma_f16 v45, v235, v8, -v9
	v_mul_f16_e32 v8, v102, v7
	s_delay_alu instid0(VALU_DEP_3) | instskip(SKIP_1) | instid1(VALU_DEP_1)
	v_fmac_f16_e64 v44, v235, v6
	v_lshrrev_b32_e32 v6, 16, v7
	v_mul_f16_e32 v17, v102, v6
	s_delay_alu instid0(VALU_DEP_4) | instskip(SKIP_4) | instid1(VALU_DEP_3)
	v_fma_f16 v21, v231, v6, -v8
	s_wait_dscnt 0x0
	v_lshrrev_b32_e32 v2, 16, v3
	v_mul_f16_e64 v5, v218, v3
	v_fmac_f16_e64 v17, v231, v7
	v_mul_f16_e64 v32, v218, v2
	s_delay_alu instid0(VALU_DEP_3)
	v_fma_f16 v33, v25, v2, -v5
	ds_load_2addr_b32 v[5:6], v138 offset0:56 offset1:252
	v_fmac_f16_e32 v32, v25, v3
	s_wait_dscnt 0x0
	v_lshrrev_b32_e32 v2, 16, v5
	v_mul_f16_e64 v7, v219, v5
	v_lshrrev_b32_e32 v10, 16, v6
	v_mul_f16_e64 v11, v223, v6
	s_delay_alu instid0(VALU_DEP_4) | instskip(NEXT) | instid1(VALU_DEP_4)
	v_mul_f16_e64 v34, v219, v2
	v_fma_f16 v35, v26, v2, -v7
	ds_load_2addr_b32 v[7:8], v197 offset0:8 offset1:204
	v_fmac_f16_e32 v34, v26, v5
	s_wait_dscnt 0x0
	v_lshrrev_b32_e32 v2, 16, v7
	v_mul_f16_e64 v9, v217, v7
	v_lshrrev_b32_e32 v12, 16, v8
	v_mul_f16_e64 v13, v222, v8
	s_delay_alu instid0(VALU_DEP_4) | instskip(NEXT) | instid1(VALU_DEP_4)
	v_mul_f16_e64 v36, v217, v2
	v_fma_f16 v37, v27, v2, -v9
	v_mul_f16_e32 v2, v95, v0
	v_mul_f16_e32 v9, v92, v4
	v_mul_f16_e64 v5, v222, v12
	v_fmac_f16_e32 v36, v27, v7
	v_mul_f16_e32 v7, v95, v1
	v_fmac_f16_e32 v2, v28, v1
	v_lshrrev_b32_e32 v1, 16, v4
	v_fmac_f16_e32 v5, v31, v8
	s_delay_alu instid0(VALU_DEP_4) | instskip(NEXT) | instid1(VALU_DEP_3)
	v_fma_f16 v8, v28, v0, -v7
	v_mul_f16_e32 v3, v92, v1
	v_fma_f16 v7, v29, v1, -v9
	ds_load_2addr_b32 v[0:1], v155 offset0:16 offset1:212
	v_fma_f16 v9, v31, v12, -v13
	v_fmac_f16_e32 v3, v29, v4
	v_mul_f16_e64 v4, v223, v10
	s_delay_alu instid0(VALU_DEP_1) | instskip(SKIP_4) | instid1(VALU_DEP_2)
	v_fmac_f16_e32 v4, v30, v6
	v_fma_f16 v6, v30, v10, -v11
	s_wait_dscnt 0x0
	v_lshrrev_b32_e32 v10, 16, v0
	v_mul_f16_e64 v11, v213, v0
	v_mul_f16_e64 v24, v213, v10
	s_delay_alu instid0(VALU_DEP_2) | instskip(SKIP_3) | instid1(VALU_DEP_1)
	v_fma_f16 v25, v74, v10, -v11
	ds_load_2addr_b32 v[10:11], v150 offset0:32 offset1:228
	v_fmac_f16_e32 v24, v74, v0
	v_lshrrev_b32_e32 v0, 16, v1
	v_mul_f16_e64 v28, v212, v0
	s_delay_alu instid0(VALU_DEP_1) | instskip(SKIP_3) | instid1(VALU_DEP_2)
	v_fmac_f16_e32 v28, v76, v1
	s_wait_dscnt 0x0
	v_lshrrev_b32_e32 v12, 16, v10
	v_mul_f16_e64 v13, v216, v10
	v_mul_f16_e64 v26, v216, v12
	s_delay_alu instid0(VALU_DEP_2) | instskip(SKIP_1) | instid1(VALU_DEP_3)
	v_fma_f16 v27, v75, v12, -v13
	v_mul_f16_e64 v12, v214, v11
	v_fmac_f16_e32 v26, v75, v10
	v_mul_f16_e64 v10, v212, v1
	v_lshrrev_b32_e32 v1, 16, v11
	s_delay_alu instid0(VALU_DEP_2) | instskip(NEXT) | instid1(VALU_DEP_2)
	v_fma_f16 v30, v76, v0, -v10
	v_mul_f16_e64 v29, v214, v1
	v_fma_f16 v31, v77, v1, -v12
	ds_load_2addr_b32 v[0:1], v194 offset0:24 offset1:220
	v_fmac_f16_e32 v29, v77, v11
	s_wait_dscnt 0x0
	v_lshrrev_b32_e32 v10, 16, v0
	v_mul_f16_e64 v11, v166, v0
	s_delay_alu instid0(VALU_DEP_2) | instskip(NEXT) | instid1(VALU_DEP_2)
	v_mul_f16_e64 v46, v166, v10
	v_fma_f16 v47, v84, v10, -v11
	ds_load_2addr_b32 v[11:12], v116 offset0:40 offset1:236
	v_fmac_f16_e32 v46, v84, v0
	v_lshrrev_b32_e32 v0, 16, v1
	s_wait_dscnt 0x0
	v_lshrrev_b32_e32 v10, 16, v11
	v_mul_f16_e64 v13, v147, v11
	v_mul_f16_e64 v50, v221, v12
	s_delay_alu instid0(VALU_DEP_3) | instskip(NEXT) | instid1(VALU_DEP_3)
	v_mul_f16_e64 v48, v147, v10
	v_fma_f16 v49, v85, v10, -v13
	v_mul_f16_e64 v10, v220, v0
	v_mul_f16_e64 v13, v220, v1
	s_delay_alu instid0(VALU_DEP_4) | instskip(NEXT) | instid1(VALU_DEP_3)
	v_fmac_f16_e32 v48, v85, v11
	v_fmac_f16_e32 v10, v86, v1
	v_lshrrev_b32_e32 v1, 16, v12
	s_delay_alu instid0(VALU_DEP_1) | instskip(NEXT) | instid1(VALU_DEP_1)
	v_mul_f16_e64 v11, v221, v1
	v_fmac_f16_e32 v11, v87, v12
	v_fma_f16 v12, v86, v0, -v13
	v_fma_f16 v13, v87, v1, -v50
	v_add_f16_e32 v0, v38, v26
	v_sub_f16_e32 v1, v38, v26
	v_add_f16_e32 v38, v40, v24
	v_add_f16_e32 v26, v39, v27
	v_sub_f16_e32 v27, v39, v27
	v_sub_f16_e32 v24, v40, v24
	v_add_f16_e32 v39, v41, v25
	v_sub_f16_e32 v25, v41, v25
	v_add_f16_e32 v40, v42, v44
	v_sub_f16_e32 v41, v44, v42
	v_add_f16_e32 v44, v38, v0
	v_add_f16_e32 v42, v43, v45
	v_sub_f16_e32 v43, v45, v43
	v_sub_f16_e32 v45, v38, v0
	;; [unrolled: 1-line block ×4, first 2 shown]
	v_add_f16_e32 v40, v40, v44
	v_add_f16_e32 v44, v39, v26
	v_sub_f16_e32 v50, v39, v26
	v_sub_f16_e32 v26, v26, v42
	;; [unrolled: 1-line block ×4, first 2 shown]
	v_add_f16_e32 v42, v42, v44
	v_add_f16_e32 v44, v41, v24
	v_sub_f16_e32 v41, v1, v41
	v_sub_f16_e32 v24, v24, v1
	;; [unrolled: 1-line block ×3, first 2 shown]
	v_mul_f16_e32 v0, 0x3a52, v0
	v_add_f16_e32 v44, v44, v1
	v_add_f16_e32 v1, v43, v25
	v_sub_f16_e32 v43, v27, v43
	v_sub_f16_e32 v25, v25, v27
	s_delay_alu instid0(VALU_DEP_3) | instskip(SKIP_2) | instid1(VALU_DEP_2)
	v_add_f16_e32 v27, v1, v27
	v_mul_f16_e32 v1, 0x2b26, v38
	v_fmamk_f16 v38, v38, 0x2b26, v0
	v_fma_f16 v53, v45, 0x39e0, -v1
	v_fma_f16 v45, v45, 0xb9e0, -v0
	v_mul_f16_e32 v0, 0x3a52, v26
	v_mul_f16_e32 v1, 0x2b26, v39
	s_delay_alu instid0(VALU_DEP_2) | instskip(NEXT) | instid1(VALU_DEP_2)
	v_fmamk_f16 v26, v39, 0x2b26, v0
	v_fma_f16 v39, v50, 0x39e0, -v1
	v_fma_f16 v50, v50, 0xb9e0, -v0
	v_mul_f16_e32 v0, 0x3846, v51
	v_mul_f16_e32 v51, 0x3b00, v24
	s_delay_alu instid0(VALU_DEP_2) | instskip(SKIP_2) | instid1(VALU_DEP_4)
	v_fma_f16 v24, v24, 0xbb00, -v0
	v_fmamk_f16 v54, v41, 0xb574, v0
	v_mul_f16_e32 v0, 0x3846, v52
	v_fmac_f16_e32 v51, 0x3574, v41
	v_mul_f16_e32 v41, 0x3b00, v25
	v_fmac_f16_e32 v24, 0xb70e, v44
	v_fmac_f16_e32 v54, 0xb70e, v44
	v_fma_f16 v25, v25, 0xbb00, -v0
	v_fmamk_f16 v52, v43, 0xb574, v0
	ds_load_2addr_b32 v[0:1], v154 offset1:196
	v_fmac_f16_e32 v41, 0x3574, v43
	v_fmac_f16_e32 v51, 0xb70e, v44
	;; [unrolled: 1-line block ×4, first 2 shown]
	s_delay_alu instid0(VALU_DEP_4) | instskip(SKIP_4) | instid1(VALU_DEP_3)
	v_fmac_f16_e32 v41, 0xb70e, v27
	s_wait_dscnt 0x0
	v_add_f16_e32 v43, v0, v40
	v_lshrrev_b32_e32 v0, 16, v0
	v_lshrrev_b32_e32 v55, 16, v1
	v_fmamk_f16 v40, v40, 0xbcab, v43
	s_delay_alu instid0(VALU_DEP_3) | instskip(NEXT) | instid1(VALU_DEP_2)
	v_add_f16_e32 v0, v0, v42
	v_add_f16_e32 v38, v38, v40
	s_delay_alu instid0(VALU_DEP_2)
	v_fmamk_f16 v42, v42, 0xbcab, v0
	v_add_f16_e32 v53, v53, v40
	v_add_f16_e32 v40, v45, v40
	v_pack_b32_f16 v43, v43, v0
	v_add_f16_e32 v45, v52, v38
	v_add_f16_e32 v26, v26, v42
	;; [unrolled: 1-line block ×4, first 2 shown]
	v_sub_f16_e32 v38, v38, v52
	v_add_f16_e32 v52, v15, v28
	v_sub_f16_e32 v27, v53, v25
	v_add_f16_e32 v44, v24, v39
	;; [unrolled: 2-line block ×3, first 2 shown]
	v_sub_f16_e32 v40, v40, v41
	v_sub_f16_e32 v41, v42, v51
	v_add_f16_e32 v42, v51, v42
	v_add_f16_e32 v51, v14, v29
	;; [unrolled: 1-line block ×3, first 2 shown]
	v_sub_f16_e32 v50, v26, v54
	v_add_f16_e32 v26, v54, v26
	v_add_f16_e32 v53, v16, v17
	;; [unrolled: 1-line block ×3, first 2 shown]
	v_pack_b32_f16 v27, v27, v44
	v_pack_b32_f16 v0, v45, v50
	;; [unrolled: 1-line block ×4, first 2 shown]
	v_add_f16_e32 v54, v53, v54
	v_pack_b32_f16 v26, v38, v26
	v_sub_f16_e32 v29, v14, v29
	v_sub_f16_e32 v15, v15, v28
	;; [unrolled: 1-line block ×3, first 2 shown]
	v_add_f16_e32 v56, v1, v54
	v_pack_b32_f16 v1, v39, v41
	ds_store_b32 v154, v0 offset:3136
	ds_store_b32 v154, v1 offset:6272
	;; [unrolled: 1-line block ×6, first 2 shown]
	v_add_f16_e32 v24, v18, v31
	v_add_f16_e32 v25, v19, v30
	;; [unrolled: 1-line block ×3, first 2 shown]
	v_sub_f16_e32 v18, v18, v31
	v_sub_f16_e32 v19, v19, v30
	;; [unrolled: 1-line block ×3, first 2 shown]
	v_add_f16_e32 v0, v25, v24
	v_add_f16_e32 v28, v32, v46
	v_sub_f16_e32 v30, v32, v46
	v_add_f16_e32 v31, v33, v47
	v_sub_f16_e32 v32, v33, v47
	v_add_f16_e32 v27, v26, v0
	v_add_f16_e32 v33, v34, v36
	v_sub_f16_e32 v34, v36, v34
	v_add_f16_e32 v36, v35, v37
	v_sub_f16_e32 v35, v37, v35
	v_add_f16_e32 v38, v55, v27
	v_sub_f16_e32 v37, v51, v53
	ds_load_2addr_b32 v[0:1], v124 offset0:8 offset1:204
	v_add_f16_e32 v40, v14, v15
	v_sub_f16_e32 v41, v14, v15
	v_pack_b32_f16 v39, v56, v38
	v_fmamk_f16 v20, v27, 0xbcab, v38
	v_sub_f16_e32 v38, v53, v52
	v_sub_f16_e32 v42, v29, v14
	v_add_f16_e32 v14, v16, v19
	ds_store_2addr_b32 v154, v43, v39 offset1:196
	v_sub_f16_e32 v39, v24, v26
	v_sub_f16_e32 v43, v16, v19
	v_mul_f16_e32 v37, 0x3a52, v37
	v_fmamk_f16 v17, v54, 0xbcab, v56
	v_sub_f16_e32 v26, v26, v25
	v_sub_f16_e32 v16, v18, v16
	v_add_f16_e32 v44, v14, v18
	v_mul_f16_e32 v39, 0x3a52, v39
	v_mul_f16_e32 v41, 0x3846, v41
	;; [unrolled: 1-line block ×3, first 2 shown]
	v_fmamk_f16 v14, v38, 0x2b26, v37
	v_add_f16_e32 v21, v22, v48
	v_sub_f16_e32 v22, v22, v48
	v_add_f16_e32 v40, v40, v29
	v_fmamk_f16 v47, v16, 0xb574, v43
	v_add_f16_e32 v45, v14, v17
	v_fmamk_f16 v14, v26, 0x2b26, v39
	v_fmamk_f16 v48, v42, 0xb574, v41
	v_add_f16_e32 v27, v23, v49
	v_fmac_f16_e32 v47, 0xb70e, v44
	v_sub_f16_e32 v23, v23, v49
	v_add_f16_e32 v46, v14, v20
	v_fmac_f16_e32 v48, 0xb70e, v40
	v_sub_f16_e32 v15, v15, v29
	v_add_f16_e32 v14, v47, v45
	v_sub_f16_e32 v18, v19, v18
	v_sub_f16_e32 v29, v52, v51
	;; [unrolled: 1-line block ×4, first 2 shown]
	v_mul_f16_e32 v19, 0x3b00, v15
	v_mul_f16_e32 v25, 0x3b00, v18
	v_sub_f16_e32 v53, v21, v33
	v_pack_b32_f16 v49, v14, v49
	v_add_f16_e32 v14, v28, v21
	v_sub_f16_e32 v55, v27, v36
	v_sub_f16_e32 v56, v34, v30
	v_add_f16_e32 v57, v35, v32
	v_fmac_f16_e32 v19, 0x3574, v42
	v_add_f16_e32 v50, v33, v14
	v_add_f16_e32 v14, v31, v27
	v_fmac_f16_e32 v25, 0x3574, v16
	v_sub_f16_e32 v16, v28, v21
	v_sub_f16_e32 v21, v31, v27
	;; [unrolled: 1-line block ×3, first 2 shown]
	v_add_f16_e32 v54, v36, v14
	v_add_f16_e32 v14, v34, v30
	v_sub_f16_e32 v36, v36, v31
	v_sub_f16_e32 v34, v22, v34
	v_fma_f16 v31, v24, 0xb9e0, -v39
	v_sub_f16_e32 v35, v23, v35
	v_add_f16_e32 v59, v14, v22
	v_sub_f16_e32 v22, v30, v22
	v_fma_f16 v30, v29, 0xb9e0, -v37
	v_add_f16_e32 v57, v57, v23
	s_wait_dscnt 0x1
	v_lshrrev_b32_e32 v14, 16, v0
	v_mul_f16_e32 v56, 0x3846, v56
	v_sub_f16_e32 v23, v32, v23
	v_mul_f16_e32 v27, 0x3b00, v22
	v_add_f16_e32 v30, v30, v17
	v_add_f16_e32 v31, v31, v20
	v_fmac_f16_e32 v25, 0xb70e, v44
	v_fmac_f16_e32 v19, 0xb70e, v40
	v_sub_f16_e32 v33, v33, v28
	v_add_f16_e32 v14, v14, v54
	v_mul_f16_e32 v53, 0x3a52, v53
	v_mul_f16_e32 v55, 0x3a52, v55
	;; [unrolled: 1-line block ×3, first 2 shown]
	v_add_f16_e32 v0, v0, v50
	v_fmamk_f16 v63, v34, 0xb574, v56
	v_fmac_f16_e32 v27, 0x3574, v34
	v_mul_f16_e32 v28, 0x3b00, v23
	v_add_f16_e32 v32, v25, v30
	v_sub_f16_e32 v34, v31, v19
	v_fmamk_f16 v50, v50, 0xbcab, v0
	v_fmamk_f16 v54, v54, 0xbcab, v14
	;; [unrolled: 1-line block ×3, first 2 shown]
	v_fmac_f16_e32 v28, 0x3574, v35
	v_pack_b32_f16 v32, v32, v34
	v_fma_f16 v34, v16, 0xb9e0, -v53
	v_fma_f16 v35, v21, 0xb9e0, -v55
	v_fmac_f16_e32 v27, 0xb70e, v59
	v_fmac_f16_e32 v28, 0xb70e, v57
	v_mul_f16_e32 v26, 0x2b26, v26
	v_add_f16_e32 v34, v34, v50
	v_add_f16_e32 v35, v35, v54
	v_fma_f16 v15, v15, 0xbb00, -v41
	v_fma_f16 v18, v18, 0xbb00, -v43
	;; [unrolled: 1-line block ×3, first 2 shown]
	v_add_f16_e32 v37, v28, v34
	v_sub_f16_e32 v39, v35, v27
	v_fmac_f16_e32 v15, 0xb70e, v40
	v_fma_f16 v22, v22, 0xbb00, -v56
	v_add_f16_e32 v20, v24, v20
	v_mul_f16_e32 v24, 0x2b26, v33
	v_pack_b32_f16 v37, v37, v39
	v_fma_f16 v23, v23, 0xbb00, -v58
	v_fmac_f16_e32 v18, 0xb70e, v44
	v_fmac_f16_e32 v22, 0xb70e, v59
	v_fma_f16 v16, v16, 0x39e0, -v24
	ds_store_2addr_b32 v187, v32, v37 offset0:36 offset1:232
	v_mul_f16_e32 v32, 0x2b26, v38
	v_mul_f16_e32 v24, 0x2b26, v36
	v_fmac_f16_e32 v23, 0xb70e, v57
	v_add_f16_e32 v16, v16, v50
	v_add_f16_e32 v26, v15, v20
	v_fma_f16 v29, v29, 0x39e0, -v32
	v_fma_f16 v21, v21, 0x39e0, -v24
	v_sub_f16_e32 v15, v20, v15
	v_fmamk_f16 v60, v33, 0x2b26, v53
	v_fmamk_f16 v61, v36, 0x2b26, v55
	v_add_f16_e32 v17, v29, v17
	v_add_f16_e32 v21, v21, v54
	v_fmac_f16_e32 v62, 0xb70e, v57
	v_add_f16_e32 v60, v60, v50
	v_add_f16_e32 v61, v61, v54
	v_sub_f16_e32 v24, v17, v18
	v_add_f16_e32 v17, v18, v17
	v_sub_f16_e32 v18, v21, v22
	v_fmac_f16_e32 v63, 0xb70e, v59
	v_add_f16_e32 v29, v22, v21
	v_pack_b32_f16 v24, v24, v26
	v_sub_f16_e32 v26, v16, v23
	v_add_f16_e32 v16, v23, v16
	v_pack_b32_f16 v15, v17, v15
	v_sub_f16_e32 v17, v34, v28
	v_pack_b32_f16 v0, v0, v14
	v_pack_b32_f16 v26, v26, v29
	;; [unrolled: 1-line block ×3, first 2 shown]
	v_add_f16_e32 v18, v27, v35
	v_add_f16_e32 v14, v8, v13
	;; [unrolled: 1-line block ×3, first 2 shown]
	ds_store_2addr_b32 v180, v24, v26 offset0:52 offset1:248
	ds_store_2addr_b32 v186, v15, v16 offset0:4 offset1:200
	v_sub_f16_e32 v15, v30, v25
	v_add_f16_e32 v16, v19, v31
	v_add_f16_e32 v23, v6, v9
	;; [unrolled: 1-line block ×3, first 2 shown]
	v_lshrrev_b32_e32 v21, 16, v1
	v_sub_f16_e32 v7, v7, v12
	v_pack_b32_f16 v15, v15, v16
	v_pack_b32_f16 v16, v17, v18
	v_sub_f16_e32 v17, v60, v62
	v_add_f16_e32 v18, v63, v61
	v_add_f16_e32 v24, v23, v24
	v_sub_f16_e32 v12, v23, v22
	ds_store_2addr_b32 v188, v15, v16 offset0:20 offset1:216
	v_sub_f16_e32 v15, v45, v47
	v_add_f16_e32 v16, v48, v46
	v_add_f16_e32 v21, v21, v24
	;; [unrolled: 1-line block ×3, first 2 shown]
	v_sub_f16_e32 v65, v61, v63
	v_lshrrev_b32_e32 v26, 16, v149
	v_pack_b32_f16 v15, v15, v16
	v_pack_b32_f16 v16, v17, v18
	v_lshrrev_b32_e32 v28, 16, v144
	v_pack_b32_f16 v64, v64, v65
	v_lshrrev_b32_e32 v29, 16, v142
	v_lshrrev_b32_e32 v30, 16, v117
	ds_store_2addr_b32 v215, v15, v16 offset0:36 offset1:232
	v_mad_co_u64_u32 v[15:16], null, s10, v139, 0
	ds_store_2addr_b32 v211, v49, v64 offset0:20 offset1:216
	v_lshrrev_b32_e32 v31, 16, v123
	v_mad_co_u64_u32 v[16:17], null, s11, v139, v[16:17]
	v_mad_co_u64_u32 v[17:18], null, s8, v156, 0
	s_mov_b32 s10, 0x515a4f1d
	s_mov_b32 s11, 0x3f27e225
	s_delay_alu instid0(VALU_DEP_2) | instskip(NEXT) | instid1(VALU_DEP_2)
	v_lshlrev_b64_e32 v[15:16], 2, v[15:16]
	v_mad_co_u64_u32 v[18:19], null, s9, v156, v[18:19]
	s_mul_u64 s[8:9], s[8:9], s[14:15]
	s_delay_alu instid0(VALU_DEP_2) | instskip(SKIP_1) | instid1(VALU_DEP_3)
	v_add_co_u32 v19, vcc_lo, s0, v15
	s_wait_alu 0xfffd
	v_add_co_ci_u32_e32 v20, vcc_lo, s1, v16, vcc_lo
	s_delay_alu instid0(VALU_DEP_3)
	v_lshlrev_b64_e32 v[15:16], 2, v[17:18]
	v_add_f16_e32 v17, v2, v11
	v_add_f16_e32 v18, v3, v10
	v_sub_f16_e32 v3, v3, v10
	v_sub_f16_e32 v10, v22, v14
	v_add_co_u32 v15, vcc_lo, v19, v15
	s_wait_alu 0xfffd
	v_add_co_ci_u32_e32 v16, vcc_lo, v20, v16, vcc_lo
	v_add_f16_e32 v19, v4, v5
	v_add_f16_e32 v20, v18, v17
	v_sub_f16_e32 v4, v5, v4
	v_sub_f16_e32 v5, v9, v6
	;; [unrolled: 1-line block ×4, first 2 shown]
	v_add_f16_e32 v20, v19, v20
	s_delay_alu instid0(VALU_DEP_2) | instskip(NEXT) | instid1(VALU_DEP_2)
	v_mul_f16_e32 v18, 0x2b26, v9
	v_add_f16_e32 v1, v1, v20
	s_delay_alu instid0(VALU_DEP_2) | instskip(NEXT) | instid1(VALU_DEP_2)
	v_fma_f16 v18, v6, 0x39e0, -v18
	v_pack_b32_f16 v25, v1, v21
	v_fmamk_f16 v1, v20, 0xbcab, v1
	ds_store_2addr_b32 v124, v0, v25 offset0:8 offset1:204
	v_sub_f16_e32 v0, v2, v11
	v_sub_f16_e32 v2, v8, v13
	;; [unrolled: 1-line block ×4, first 2 shown]
	v_add_f16_e32 v13, v4, v3
	v_sub_f16_e32 v14, v4, v3
	v_sub_f16_e32 v3, v3, v0
	v_mul_f16_e32 v8, 0x3a52, v8
	v_sub_f16_e32 v4, v0, v4
	v_sub_f16_e32 v17, v5, v7
	v_add_f16_e32 v0, v13, v0
	v_add_f16_e32 v13, v5, v7
	v_fmamk_f16 v9, v9, 0x2b26, v8
	v_fma_f16 v6, v6, 0xb9e0, -v8
	v_mul_f16_e32 v8, 0x3a52, v11
	v_mul_f16_e32 v11, 0x2b26, v12
	v_sub_f16_e32 v7, v7, v2
	v_sub_f16_e32 v5, v2, v5
	v_add_f16_e32 v2, v13, v2
	v_fmamk_f16 v12, v12, 0x2b26, v8
	v_fma_f16 v11, v10, 0x39e0, -v11
	v_fma_f16 v8, v10, 0xb9e0, -v8
	v_mul_f16_e32 v10, 0x3846, v14
	v_mul_f16_e32 v14, 0x3b00, v3
	v_fmamk_f16 v13, v24, 0xbcab, v21
	s_delay_alu instid0(VALU_DEP_3) | instskip(SKIP_1) | instid1(VALU_DEP_4)
	v_fma_f16 v3, v3, 0xbb00, -v10
	v_fmamk_f16 v10, v4, 0xb574, v10
	v_fmac_f16_e32 v14, 0x3574, v4
	v_mul_f16_e32 v4, 0x3846, v17
	v_mul_f16_e32 v17, 0x3b00, v7
	v_add_f16_e32 v11, v11, v13
	v_fmac_f16_e32 v10, 0xb70e, v0
	v_add_f16_e32 v8, v8, v13
	v_fma_f16 v7, v7, 0xbb00, -v4
	v_fmamk_f16 v4, v5, 0xb574, v4
	v_fmac_f16_e32 v17, 0x3574, v5
	v_add_f16_e32 v5, v9, v1
	v_add_f16_e32 v9, v18, v1
	;; [unrolled: 1-line block ×4, first 2 shown]
	v_fmac_f16_e32 v4, 0xb70e, v2
	v_fmac_f16_e32 v7, 0xb70e, v2
	;; [unrolled: 1-line block ×5, first 2 shown]
	v_add_f16_e32 v12, v4, v5
	v_sub_f16_e32 v4, v5, v4
	v_sub_f16_e32 v5, v6, v10
	;; [unrolled: 1-line block ×3, first 2 shown]
	v_add_f16_e32 v2, v7, v9
	v_add_f16_e32 v7, v3, v11
	v_sub_f16_e32 v3, v11, v3
	v_add_f16_e32 v9, v17, v1
	v_sub_f16_e32 v11, v8, v14
	v_sub_f16_e32 v1, v1, v17
	v_add_f16_e32 v8, v14, v8
	v_add_f16_e32 v6, v10, v6
	v_pack_b32_f16 v5, v12, v5
	v_pack_b32_f16 v9, v9, v11
	;; [unrolled: 1-line block ×6, first 2 shown]
	ds_store_b32 v154, v5 offset:5488
	ds_store_b32 v154, v9 offset:8624
	;; [unrolled: 1-line block ×6, first 2 shown]
	global_wb scope:SCOPE_SE
	s_wait_dscnt 0x0
	s_barrier_signal -1
	s_barrier_wait -1
	global_inv scope:SCOPE_SE
	ds_load_2addr_b32 v[3:4], v154 offset1:196
	v_lshrrev_b32_e32 v12, 16, v153
	s_clause 0x5
	scratch_load_b32 v36, off, off offset:84 th:TH_LOAD_LU
	scratch_load_b32 v35, off, off offset:80 th:TH_LOAD_LU
	;; [unrolled: 1-line block ×6, first 2 shown]
	s_wait_dscnt 0x0
	v_lshrrev_b32_e32 v8, 16, v3
	v_mul_f16_e32 v0, v12, v3
	s_delay_alu instid0(VALU_DEP_1) | instskip(NEXT) | instid1(VALU_DEP_1)
	v_fma_f16 v0, v153, v8, -v0
	v_cvt_f32_f16_e32 v0, v0
	s_delay_alu instid0(VALU_DEP_1) | instskip(SKIP_1) | instid1(VALU_DEP_1)
	v_cvt_f64_f32_e32 v[0:1], v0
	s_wait_alu 0xfffe
	v_mul_f64_e32 v[6:7], s[10:11], v[0:1]
	s_delay_alu instid0(VALU_DEP_1)
	v_and_or_b32 v0, 0x1ff, v7, v6
	v_lshrrev_b32_e32 v1, 8, v7
	v_bfe_u32 v10, v7, 20, 11
	ds_load_2addr_b32 v[5:6], v162 offset0:16 offset1:212
	v_lshrrev_b32_e32 v7, 16, v7
	v_cmp_ne_u32_e32 vcc_lo, 0, v0
	s_wait_alu 0xfffd
	v_cndmask_b32_e64 v0, 0, 1, vcc_lo
	s_delay_alu instid0(VALU_DEP_1) | instskip(SKIP_2) | instid1(VALU_DEP_3)
	v_and_or_b32 v9, 0xffe, v1, v0
	v_sub_nc_u32_e32 v0, 0x3f1, v10
	v_add_nc_u32_e32 v10, 0xfffffc10, v10
	v_or_b32_e32 v1, 0x1000, v9
	s_delay_alu instid0(VALU_DEP_3) | instskip(SKIP_2) | instid1(VALU_DEP_2)
	v_med3_i32 v0, v0, 0, 13
	s_wait_dscnt 0x0
	v_lshrrev_b32_e32 v17, 16, v5
	v_lshrrev_b32_e32 v11, v0, v1
	s_delay_alu instid0(VALU_DEP_1) | instskip(NEXT) | instid1(VALU_DEP_1)
	v_lshlrev_b32_e32 v0, v0, v11
	v_cmp_ne_u32_e32 vcc_lo, v0, v1
	v_mul_f16_e32 v0, v26, v5
	s_delay_alu instid0(VALU_DEP_1) | instskip(NEXT) | instid1(VALU_DEP_1)
	v_fma_f16 v0, v149, v17, -v0
	v_cvt_f32_f16_e32 v0, v0
	s_delay_alu instid0(VALU_DEP_1) | instskip(NEXT) | instid1(VALU_DEP_1)
	v_cvt_f64_f32_e32 v[0:1], v0
	v_mul_f64_e32 v[1:2], s[10:11], v[0:1]
	s_delay_alu instid0(VALU_DEP_1) | instskip(SKIP_3) | instid1(VALU_DEP_4)
	v_and_or_b32 v0, 0x1ff, v2, v1
	v_lshrrev_b32_e32 v1, 8, v2
	v_bfe_u32 v20, v2, 20, 11
	v_lshrrev_b32_e32 v2, 16, v2
	v_cmp_ne_u32_e64 s0, 0, v0
	s_wait_alu 0xf1ff
	s_delay_alu instid0(VALU_DEP_1) | instskip(NEXT) | instid1(VALU_DEP_1)
	v_cndmask_b32_e64 v0, 0, 1, s0
	v_and_or_b32 v19, 0xffe, v1, v0
	v_sub_nc_u32_e32 v0, 0x3f1, v20
	v_add_nc_u32_e32 v20, 0xfffffc10, v20
	s_delay_alu instid0(VALU_DEP_3) | instskip(NEXT) | instid1(VALU_DEP_3)
	v_or_b32_e32 v1, 0x1000, v19
	v_med3_i32 v0, v0, 0, 13
	s_delay_alu instid0(VALU_DEP_1) | instskip(NEXT) | instid1(VALU_DEP_1)
	v_lshrrev_b32_e32 v21, v0, v1
	v_lshlrev_b32_e32 v0, v0, v21
	s_delay_alu instid0(VALU_DEP_1) | instskip(SKIP_1) | instid1(VALU_DEP_1)
	v_cmp_ne_u32_e64 s0, v0, v1
	v_mul_f16_e32 v0, v12, v8
	v_fmac_f16_e64 v0, v153, v3
	s_delay_alu instid0(VALU_DEP_1) | instskip(NEXT) | instid1(VALU_DEP_1)
	v_cvt_f32_f16_e32 v0, v0
	v_cvt_f64_f32_e32 v[0:1], v0
	s_delay_alu instid0(VALU_DEP_1) | instskip(NEXT) | instid1(VALU_DEP_1)
	v_mul_f64_e32 v[0:1], s[10:11], v[0:1]
	v_and_or_b32 v0, 0x1ff, v1, v0
	v_lshrrev_b32_e32 v3, 8, v1
	s_delay_alu instid0(VALU_DEP_2) | instskip(SKIP_1) | instid1(VALU_DEP_1)
	v_cmp_ne_u32_e64 s1, 0, v0
	s_wait_alu 0xf1ff
	v_cndmask_b32_e64 v0, 0, 1, s1
	s_delay_alu instid0(VALU_DEP_1) | instskip(SKIP_2) | instid1(VALU_DEP_3)
	v_and_or_b32 v0, 0xffe, v3, v0
	v_bfe_u32 v3, v1, 20, 11
	v_lshrrev_b32_e32 v1, 16, v1
	v_or_b32_e32 v12, 0x1000, v0
	s_delay_alu instid0(VALU_DEP_3) | instskip(SKIP_2) | instid1(VALU_DEP_3)
	v_sub_nc_u32_e32 v8, 0x3f1, v3
	v_add_nc_u32_e32 v3, 0xfffffc10, v3
	v_cmp_ne_u32_e64 s2, 0, v0
	v_med3_i32 v8, v8, 0, 13
	s_delay_alu instid0(VALU_DEP_1) | instskip(NEXT) | instid1(VALU_DEP_1)
	v_lshrrev_b32_e32 v13, v8, v12
	v_lshlrev_b32_e32 v8, v8, v13
	s_delay_alu instid0(VALU_DEP_1) | instskip(SKIP_2) | instid1(VALU_DEP_2)
	v_cmp_ne_u32_e64 s1, v8, v12
	v_lshl_or_b32 v12, v3, 12, v0
	s_wait_alu 0xf1ff
	v_cndmask_b32_e64 v8, 0, 1, s1
	v_cmp_gt_i32_e64 s1, 1, v3
	s_delay_alu instid0(VALU_DEP_2) | instskip(SKIP_1) | instid1(VALU_DEP_1)
	v_or_b32_e32 v8, v13, v8
	s_wait_alu 0xf1ff
	v_cndmask_b32_e64 v8, v12, v8, s1
	s_wait_alu 0xfffd
	v_cndmask_b32_e64 v12, 0, 1, vcc_lo
	v_cmp_gt_i32_e32 vcc_lo, 1, v10
	s_delay_alu instid0(VALU_DEP_2) | instskip(SKIP_2) | instid1(VALU_DEP_1)
	v_or_b32_e32 v11, v11, v12
	v_lshl_or_b32 v12, v10, 12, v9
	s_wait_alu 0xfffd
	v_dual_cndmask_b32 v11, v12, v11 :: v_dual_and_b32 v12, 7, v8
	s_delay_alu instid0(VALU_DEP_1) | instskip(NEXT) | instid1(VALU_DEP_2)
	v_and_b32_e32 v0, 7, v11
	v_cmp_lt_i32_e32 vcc_lo, 5, v12
	v_cmp_eq_u32_e64 s1, 3, v12
	s_delay_alu instid0(VALU_DEP_3) | instskip(SKIP_2) | instid1(VALU_DEP_4)
	v_cmp_lt_i32_e64 s3, 5, v0
	v_cmp_eq_u32_e64 s4, 3, v0
	v_lshrrev_b32_e32 v0, 2, v8
	s_or_b32 vcc_lo, s1, vcc_lo
	v_cndmask_b32_e64 v8, 0, 1, s2
	s_delay_alu instid0(VALU_DEP_3)
	s_or_b32 s1, s4, s3
	s_wait_alu 0xfffe
	v_add_co_ci_u32_e32 v0, vcc_lo, 0, v0, vcc_lo
	v_cmp_gt_i32_e32 vcc_lo, 31, v3
	v_lshl_or_b32 v8, v8, 9, 0x7c00
	s_wait_alu 0xfffd
	s_delay_alu instid0(VALU_DEP_3) | instskip(SKIP_3) | instid1(VALU_DEP_3)
	v_cndmask_b32_e32 v0, 0x7c00, v0, vcc_lo
	v_cmp_eq_u32_e32 vcc_lo, 0x40f, v3
	v_lshrrev_b32_e32 v3, 2, v11
	s_wait_alu 0xfffd
	v_cndmask_b32_e32 v0, v0, v8, vcc_lo
	v_cmp_ne_u32_e32 vcc_lo, 0, v9
	s_delay_alu instid0(VALU_DEP_3) | instskip(SKIP_1) | instid1(VALU_DEP_4)
	v_add_co_ci_u32_e64 v3, s1, 0, v3, s1
	v_cmp_gt_i32_e64 s1, 31, v10
	v_and_or_b32 v0, 0x8000, v1, v0
	s_wait_alu 0xfffd
	v_cndmask_b32_e64 v8, 0, 1, vcc_lo
	v_cmp_eq_u32_e32 vcc_lo, 0x40f, v10
	s_wait_alu 0xf1ff
	v_cndmask_b32_e64 v3, 0x7c00, v3, s1
	v_and_b32_e32 v0, 0xffff, v0
	v_lshl_or_b32 v8, v8, 9, 0x7c00
	s_wait_alu 0xfffd
	s_delay_alu instid0(VALU_DEP_1) | instskip(SKIP_3) | instid1(VALU_DEP_3)
	v_cndmask_b32_e32 v3, v3, v8, vcc_lo
	v_add_co_u32 v12, vcc_lo, v15, s6
	s_wait_alu 0xfffd
	v_add_co_ci_u32_e32 v13, vcc_lo, s7, v16, vcc_lo
	v_and_or_b32 v1, 0x8000, v7, v3
	ds_load_2addr_b32 v[7:8], v161 offset0:32 offset1:228
	v_lshl_or_b32 v0, v1, 16, v0
	global_store_b32 v[15:16], v0, off
	s_wait_dscnt 0x0
	v_lshrrev_b32_e32 v22, 16, v7
	v_mul_f16_e32 v0, v28, v7
	s_delay_alu instid0(VALU_DEP_1) | instskip(NEXT) | instid1(VALU_DEP_1)
	v_fma_f16 v0, v144, v22, -v0
	v_cvt_f32_f16_e32 v0, v0
	s_delay_alu instid0(VALU_DEP_1) | instskip(NEXT) | instid1(VALU_DEP_1)
	v_cvt_f64_f32_e32 v[0:1], v0
	v_mul_f64_e32 v[15:16], s[10:11], v[0:1]
	s_delay_alu instid0(VALU_DEP_1) | instskip(SKIP_3) | instid1(VALU_DEP_4)
	v_and_or_b32 v0, 0x1ff, v16, v15
	v_lshrrev_b32_e32 v1, 8, v16
	v_bfe_u32 v24, v16, 20, 11
	v_lshrrev_b32_e32 v16, 16, v16
	v_cmp_ne_u32_e32 vcc_lo, 0, v0
	s_wait_alu 0xfffd
	v_cndmask_b32_e64 v0, 0, 1, vcc_lo
	s_delay_alu instid0(VALU_DEP_1) | instskip(SKIP_1) | instid1(VALU_DEP_2)
	v_and_or_b32 v23, 0xffe, v1, v0
	v_sub_nc_u32_e32 v0, 0x3f1, v24
	v_or_b32_e32 v1, 0x1000, v23
	s_delay_alu instid0(VALU_DEP_2) | instskip(NEXT) | instid1(VALU_DEP_1)
	v_med3_i32 v0, v0, 0, 13
	v_lshrrev_b32_e32 v25, v0, v1
	s_delay_alu instid0(VALU_DEP_1) | instskip(NEXT) | instid1(VALU_DEP_1)
	v_lshlrev_b32_e32 v0, v0, v25
	v_cmp_ne_u32_e64 s1, v0, v1
	ds_load_2addr_b32 v[0:1], v160 offset0:48 offset1:244
	s_wait_dscnt 0x0
	v_lshrrev_b32_e32 v11, 16, v0
	v_mul_f16_e32 v3, v29, v0
	s_delay_alu instid0(VALU_DEP_1) | instskip(NEXT) | instid1(VALU_DEP_1)
	v_fma_f16 v3, v142, v11, -v3
	v_cvt_f32_f16_e32 v3, v3
	s_delay_alu instid0(VALU_DEP_1) | instskip(NEXT) | instid1(VALU_DEP_1)
	v_cvt_f64_f32_e32 v[9:10], v3
	v_mul_f64_e32 v[9:10], s[10:11], v[9:10]
	s_delay_alu instid0(VALU_DEP_1) | instskip(SKIP_3) | instid1(VALU_DEP_4)
	v_and_or_b32 v3, 0x1ff, v10, v9
	v_lshrrev_b32_e32 v9, 8, v10
	v_bfe_u32 v14, v10, 20, 11
	v_lshrrev_b32_e32 v10, 16, v10
	v_cmp_ne_u32_e32 vcc_lo, 0, v3
	s_wait_alu 0xfffd
	v_cndmask_b32_e64 v3, 0, 1, vcc_lo
	s_delay_alu instid0(VALU_DEP_1) | instskip(SKIP_1) | instid1(VALU_DEP_2)
	v_and_or_b32 v9, 0xffe, v9, v3
	v_sub_nc_u32_e32 v3, 0x3f1, v14
	v_or_b32_e32 v18, 0x1000, v9
	s_delay_alu instid0(VALU_DEP_2) | instskip(NEXT) | instid1(VALU_DEP_1)
	v_med3_i32 v3, v3, 0, 13
	v_lshrrev_b32_e32 v15, v3, v18
	s_delay_alu instid0(VALU_DEP_1) | instskip(NEXT) | instid1(VALU_DEP_1)
	v_lshlrev_b32_e32 v3, v3, v15
	v_cmp_ne_u32_e32 vcc_lo, v3, v18
	v_mul_f16_e32 v3, v26, v17
	s_delay_alu instid0(VALU_DEP_1) | instskip(NEXT) | instid1(VALU_DEP_1)
	v_fmac_f16_e64 v3, v149, v5
	v_cvt_f32_f16_e32 v3, v3
	s_delay_alu instid0(VALU_DEP_1) | instskip(NEXT) | instid1(VALU_DEP_1)
	v_cvt_f64_f32_e32 v[17:18], v3
	v_mul_f64_e32 v[17:18], s[10:11], v[17:18]
	s_delay_alu instid0(VALU_DEP_1) | instskip(SKIP_1) | instid1(VALU_DEP_2)
	v_and_or_b32 v3, 0x1ff, v18, v17
	v_lshrrev_b32_e32 v5, 8, v18
	v_cmp_ne_u32_e64 s2, 0, v3
	s_wait_alu 0xf1ff
	s_delay_alu instid0(VALU_DEP_1) | instskip(NEXT) | instid1(VALU_DEP_1)
	v_cndmask_b32_e64 v3, 0, 1, s2
	v_and_or_b32 v3, 0xffe, v5, v3
	v_bfe_u32 v5, v18, 20, 11
	s_delay_alu instid0(VALU_DEP_2) | instskip(NEXT) | instid1(VALU_DEP_2)
	v_or_b32_e32 v26, 0x1000, v3
	v_sub_nc_u32_e32 v17, 0x3f1, v5
	v_add_nc_u32_e32 v5, 0xfffffc10, v5
	v_cmp_ne_u32_e64 s4, 0, v3
	s_delay_alu instid0(VALU_DEP_3) | instskip(NEXT) | instid1(VALU_DEP_1)
	v_med3_i32 v17, v17, 0, 13
	v_lshrrev_b32_e32 v27, v17, v26
	s_delay_alu instid0(VALU_DEP_1) | instskip(NEXT) | instid1(VALU_DEP_1)
	v_lshlrev_b32_e32 v17, v17, v27
	v_cmp_ne_u32_e64 s2, v17, v26
	v_lshl_or_b32 v26, v5, 12, v3
	v_cndmask_b32_e64 v3, 0, 1, s0
	v_cmp_gt_i32_e64 s0, 1, v20
	s_wait_alu 0xf1ff
	v_cndmask_b32_e64 v17, 0, 1, s2
	v_cmp_gt_i32_e64 s2, 1, v5
	v_or_b32_e32 v3, v21, v3
	v_lshl_or_b32 v21, v20, 12, v19
	s_delay_alu instid0(VALU_DEP_4) | instskip(NEXT) | instid1(VALU_DEP_2)
	v_or_b32_e32 v17, v27, v17
	v_cndmask_b32_e64 v3, v21, v3, s0
	v_cndmask_b32_e64 v21, 0, 1, s4
	s_wait_alu 0xf1ff
	s_delay_alu instid0(VALU_DEP_3) | instskip(NEXT) | instid1(VALU_DEP_2)
	v_cndmask_b32_e64 v17, v26, v17, s2
	v_lshl_or_b32 v21, v21, 9, 0x7c00
	s_delay_alu instid0(VALU_DEP_2) | instskip(SKIP_1) | instid1(VALU_DEP_2)
	v_and_b32_e32 v26, 7, v17
	v_lshrrev_b32_e32 v17, 2, v17
	v_cmp_lt_i32_e64 s2, 5, v26
	v_cmp_eq_u32_e64 s3, 3, v26
	s_delay_alu instid0(VALU_DEP_1)
	s_or_b32 s0, s3, s2
	v_cmp_ne_u32_e64 s3, 0, v19
	s_wait_alu 0xfffe
	v_add_co_ci_u32_e64 v17, s0, 0, v17, s0
	v_cmp_gt_i32_e64 s0, 31, v5
	s_wait_alu 0xf1ff
	s_delay_alu instid0(VALU_DEP_1) | instskip(SKIP_2) | instid1(VALU_DEP_1)
	v_cndmask_b32_e64 v17, 0x7c00, v17, s0
	v_cmp_eq_u32_e64 s0, 0x40f, v5
	s_wait_alu 0xf1ff
	v_cndmask_b32_e64 v5, v17, v21, s0
	v_lshrrev_b32_e32 v17, 16, v18
	v_and_b32_e32 v18, 7, v3
	v_lshrrev_b32_e32 v3, 2, v3
	s_delay_alu instid0(VALU_DEP_3) | instskip(NEXT) | instid1(VALU_DEP_3)
	v_and_or_b32 v5, 0x8000, v17, v5
	v_cmp_lt_i32_e64 s0, 5, v18
	v_cmp_eq_u32_e64 s2, 3, v18
	v_cndmask_b32_e64 v18, 0, 1, s3
	s_delay_alu instid0(VALU_DEP_2) | instskip(NEXT) | instid1(VALU_DEP_1)
	s_or_b32 s0, s2, s0
	v_lshl_or_b32 v18, v18, 9, 0x7c00
	s_wait_alu 0xfffe
	v_add_co_ci_u32_e64 v3, s0, 0, v3, s0
	v_cmp_gt_i32_e64 s0, 31, v20
	s_wait_alu 0xf1ff
	s_delay_alu instid0(VALU_DEP_1) | instskip(SKIP_2) | instid1(VALU_DEP_1)
	v_cndmask_b32_e64 v3, 0x7c00, v3, s0
	v_cmp_eq_u32_e64 s0, 0x40f, v20
	s_wait_alu 0xf1ff
	v_cndmask_b32_e64 v3, v3, v18, s0
	v_add_co_u32 v17, s0, v12, s6
	s_wait_alu 0xf1ff
	v_add_co_ci_u32_e64 v18, s0, s7, v13, s0
	s_delay_alu instid0(VALU_DEP_3) | instskip(SKIP_1) | instid1(VALU_DEP_1)
	v_and_or_b32 v2, 0x8000, v2, v3
	v_and_b32_e32 v3, 0xffff, v5
	v_lshl_or_b32 v2, v2, 16, v3
	global_store_b32 v[12:13], v2, off
	ds_load_2addr_b32 v[2:3], v158 offset1:196
	s_wait_dscnt 0x0
	v_lshrrev_b32_e32 v5, 16, v2
	v_mul_f16_e32 v12, v30, v2
	s_delay_alu instid0(VALU_DEP_1) | instskip(NEXT) | instid1(VALU_DEP_1)
	v_fma_f16 v12, v117, v5, -v12
	v_cvt_f32_f16_e32 v12, v12
	s_delay_alu instid0(VALU_DEP_1) | instskip(NEXT) | instid1(VALU_DEP_1)
	v_cvt_f64_f32_e32 v[12:13], v12
	v_mul_f64_e32 v[12:13], s[10:11], v[12:13]
	s_delay_alu instid0(VALU_DEP_1) | instskip(SKIP_3) | instid1(VALU_DEP_4)
	v_and_or_b32 v12, 0x1ff, v13, v12
	v_lshrrev_b32_e32 v19, 8, v13
	v_bfe_u32 v26, v13, 20, 11
	v_lshrrev_b32_e32 v13, 16, v13
	v_cmp_ne_u32_e64 s0, 0, v12
	s_wait_alu 0xf1ff
	s_delay_alu instid0(VALU_DEP_1) | instskip(NEXT) | instid1(VALU_DEP_1)
	v_cndmask_b32_e64 v12, 0, 1, s0
	v_and_or_b32 v21, 0xffe, v19, v12
	v_sub_nc_u32_e32 v12, 0x3f1, v26
	s_delay_alu instid0(VALU_DEP_2) | instskip(NEXT) | instid1(VALU_DEP_2)
	v_or_b32_e32 v19, 0x1000, v21
	v_med3_i32 v12, v12, 0, 13
	s_delay_alu instid0(VALU_DEP_1) | instskip(NEXT) | instid1(VALU_DEP_1)
	v_lshrrev_b32_e32 v27, v12, v19
	v_lshlrev_b32_e32 v12, v12, v27
	s_delay_alu instid0(VALU_DEP_1) | instskip(SKIP_1) | instid1(VALU_DEP_1)
	v_cmp_ne_u32_e64 s0, v12, v19
	v_mul_f16_e32 v12, v28, v22
	v_fmac_f16_e64 v12, v144, v7
	s_delay_alu instid0(VALU_DEP_1) | instskip(NEXT) | instid1(VALU_DEP_1)
	v_cvt_f32_f16_e32 v7, v12
	v_cvt_f64_f32_e32 v[19:20], v7
	s_delay_alu instid0(VALU_DEP_1) | instskip(NEXT) | instid1(VALU_DEP_1)
	v_mul_f64_e32 v[19:20], s[10:11], v[19:20]
	v_and_or_b32 v7, 0x1ff, v20, v19
	v_lshrrev_b32_e32 v12, 8, v20
	s_delay_alu instid0(VALU_DEP_2) | instskip(SKIP_1) | instid1(VALU_DEP_1)
	v_cmp_ne_u32_e64 s2, 0, v7
	s_wait_alu 0xf1ff
	v_cndmask_b32_e64 v7, 0, 1, s2
	s_delay_alu instid0(VALU_DEP_1) | instskip(SKIP_1) | instid1(VALU_DEP_2)
	v_and_or_b32 v7, 0xffe, v12, v7
	v_bfe_u32 v12, v20, 20, 11
	v_or_b32_e32 v22, 0x1000, v7
	s_delay_alu instid0(VALU_DEP_2) | instskip(SKIP_1) | instid1(VALU_DEP_2)
	v_sub_nc_u32_e32 v19, 0x3f1, v12
	v_add_nc_u32_e32 v12, 0xfffffc10, v12
	v_med3_i32 v19, v19, 0, 13
	s_delay_alu instid0(VALU_DEP_1) | instskip(NEXT) | instid1(VALU_DEP_1)
	v_lshrrev_b32_e32 v28, v19, v22
	v_lshlrev_b32_e32 v19, v19, v28
	s_delay_alu instid0(VALU_DEP_1) | instskip(SKIP_2) | instid1(VALU_DEP_2)
	v_cmp_ne_u32_e64 s2, v19, v22
	v_lshl_or_b32 v22, v12, 12, v7
	s_wait_alu 0xf1ff
	v_cndmask_b32_e64 v19, 0, 1, s2
	v_cmp_gt_i32_e64 s2, 1, v12
	s_delay_alu instid0(VALU_DEP_2) | instskip(SKIP_2) | instid1(VALU_DEP_2)
	v_or_b32_e32 v19, v28, v19
	v_lshrrev_b32_e32 v28, 16, v130
	s_wait_alu 0xf1ff
	v_cndmask_b32_e64 v19, v22, v19, s2
	s_delay_alu instid0(VALU_DEP_1) | instskip(SKIP_1) | instid1(VALU_DEP_2)
	v_and_b32_e32 v22, 7, v19
	v_lshrrev_b32_e32 v19, 2, v19
	v_cmp_lt_i32_e64 s2, 5, v22
	v_cmp_eq_u32_e64 s3, 3, v22
	v_cndmask_b32_e64 v22, 0, 1, s1
	v_cmp_ne_u32_e64 s1, 0, v7
	v_add_nc_u32_e32 v7, 0xfffffc10, v24
	s_delay_alu instid0(VALU_DEP_4) | instskip(NEXT) | instid1(VALU_DEP_3)
	s_or_b32 s2, s3, s2
	v_or_b32_e32 v22, v25, v22
	s_wait_alu 0xfffe
	v_add_co_ci_u32_e64 v19, s2, 0, v19, s2
	v_lshl_or_b32 v24, v7, 12, v23
	v_cmp_gt_i32_e64 s4, 1, v7
	v_cmp_gt_i32_e64 s2, 31, v12
	v_cmp_ne_u32_e64 s3, 0, v23
	s_wait_alu 0xf1ff
	s_delay_alu instid0(VALU_DEP_3) | instskip(SKIP_3) | instid1(VALU_DEP_3)
	v_cndmask_b32_e64 v22, v24, v22, s4
	v_cndmask_b32_e64 v24, 0, 1, s1
	;; [unrolled: 1-line block ×3, first 2 shown]
	v_cmp_eq_u32_e64 s1, 0x40f, v12
	v_lshl_or_b32 v24, v24, 9, 0x7c00
	s_wait_alu 0xf1ff
	s_delay_alu instid0(VALU_DEP_1) | instskip(SKIP_2) | instid1(VALU_DEP_2)
	v_cndmask_b32_e64 v12, v19, v24, s1
	v_lshrrev_b32_e32 v19, 16, v20
	v_and_b32_e32 v20, 7, v22
	v_and_or_b32 v12, 0x8000, v19, v12
	s_delay_alu instid0(VALU_DEP_2) | instskip(SKIP_4) | instid1(VALU_DEP_4)
	v_cmp_lt_i32_e64 s1, 5, v20
	v_cmp_eq_u32_e64 s2, 3, v20
	v_lshrrev_b32_e32 v20, 2, v22
	v_cndmask_b32_e64 v22, 0, 1, s3
	v_and_b32_e32 v12, 0xffff, v12
	s_or_b32 s1, s2, s1
	s_wait_alu 0xfffe
	v_add_co_ci_u32_e64 v20, s1, 0, v20, s1
	v_cmp_gt_i32_e64 s1, 31, v7
	v_lshl_or_b32 v22, v22, 9, 0x7c00
	s_wait_alu 0xf1ff
	s_delay_alu instid0(VALU_DEP_2) | instskip(SKIP_2) | instid1(VALU_DEP_1)
	v_cndmask_b32_e64 v20, 0x7c00, v20, s1
	v_cmp_eq_u32_e64 s1, 0x40f, v7
	s_wait_alu 0xf1ff
	v_cndmask_b32_e64 v7, v20, v22, s1
	s_delay_alu instid0(VALU_DEP_1) | instskip(SKIP_1) | instid1(VALU_DEP_2)
	v_and_or_b32 v7, 0x8000, v16, v7
	v_add_co_u32 v16, s1, v17, s6
	v_lshl_or_b32 v7, v7, 16, v12
	global_store_b32 v[17:18], v7, off
	v_mul_f16_e32 v7, v29, v11
	s_wait_alu 0xf1ff
	v_add_co_ci_u32_e64 v17, s1, s7, v18, s1
	v_lshrrev_b32_e32 v29, 16, v140
	s_delay_alu instid0(VALU_DEP_3) | instskip(NEXT) | instid1(VALU_DEP_1)
	v_fmac_f16_e64 v7, v142, v0
	v_cvt_f32_f16_e32 v0, v7
	s_delay_alu instid0(VALU_DEP_1) | instskip(NEXT) | instid1(VALU_DEP_1)
	v_cvt_f64_f32_e32 v[11:12], v0
	v_mul_f64_e32 v[11:12], s[10:11], v[11:12]
	s_delay_alu instid0(VALU_DEP_1) | instskip(SKIP_1) | instid1(VALU_DEP_2)
	v_and_or_b32 v0, 0x1ff, v12, v11
	v_lshrrev_b32_e32 v7, 8, v12
	v_cmp_ne_u32_e64 s1, 0, v0
	s_wait_alu 0xf1ff
	s_delay_alu instid0(VALU_DEP_1) | instskip(NEXT) | instid1(VALU_DEP_1)
	v_cndmask_b32_e64 v0, 0, 1, s1
	v_and_or_b32 v0, 0xffe, v7, v0
	v_bfe_u32 v7, v12, 20, 11
	s_delay_alu instid0(VALU_DEP_2) | instskip(NEXT) | instid1(VALU_DEP_2)
	v_or_b32_e32 v18, 0x1000, v0
	v_sub_nc_u32_e32 v11, 0x3f1, v7
	v_add_nc_u32_e32 v7, 0xfffffc10, v7
	s_delay_alu instid0(VALU_DEP_2) | instskip(NEXT) | instid1(VALU_DEP_1)
	v_med3_i32 v11, v11, 0, 13
	v_lshrrev_b32_e32 v19, v11, v18
	s_delay_alu instid0(VALU_DEP_1) | instskip(NEXT) | instid1(VALU_DEP_1)
	v_lshlrev_b32_e32 v11, v11, v19
	v_cmp_ne_u32_e64 s1, v11, v18
	v_lshl_or_b32 v18, v7, 12, v0
	s_wait_alu 0xf1ff
	s_delay_alu instid0(VALU_DEP_2) | instskip(SKIP_1) | instid1(VALU_DEP_2)
	v_cndmask_b32_e64 v11, 0, 1, s1
	v_cmp_gt_i32_e64 s1, 1, v7
	v_or_b32_e32 v11, v19, v11
	v_lshrrev_b32_e32 v19, 16, v145
	s_wait_alu 0xf1ff
	s_delay_alu instid0(VALU_DEP_2) | instskip(NEXT) | instid1(VALU_DEP_1)
	v_cndmask_b32_e64 v11, v18, v11, s1
	v_and_b32_e32 v18, 7, v11
	v_lshrrev_b32_e32 v11, 2, v11
	s_delay_alu instid0(VALU_DEP_2)
	v_cmp_lt_i32_e64 s1, 5, v18
	v_cmp_eq_u32_e64 s2, 3, v18
	s_wait_alu 0xfffd
	v_cndmask_b32_e64 v18, 0, 1, vcc_lo
	v_cmp_ne_u32_e32 vcc_lo, 0, v0
	v_add_nc_u32_e32 v0, 0xfffffc10, v14
	s_or_b32 s1, s2, s1
	s_delay_alu instid0(VALU_DEP_3)
	v_or_b32_e32 v15, v15, v18
	s_wait_alu 0xfffe
	v_add_co_ci_u32_e64 v11, s1, 0, v11, s1
	v_lshl_or_b32 v14, v0, 12, v9
	v_cmp_gt_i32_e64 s3, 1, v0
	v_cmp_gt_i32_e64 s1, 31, v7
	v_cmp_ne_u32_e64 s2, 0, v9
	v_lshrrev_b32_e32 v9, 16, v12
	s_wait_alu 0xf1ff
	v_cndmask_b32_e64 v14, v14, v15, s3
	s_wait_alu 0xfffd
	v_cndmask_b32_e64 v15, 0, 1, vcc_lo
	v_cndmask_b32_e64 v11, 0x7c00, v11, s1
	v_cmp_eq_u32_e32 vcc_lo, 0x40f, v7
	v_cndmask_b32_e64 v12, 0, 1, s2
	s_delay_alu instid0(VALU_DEP_4) | instskip(NEXT) | instid1(VALU_DEP_2)
	v_lshl_or_b32 v15, v15, 9, 0x7c00
	v_lshl_or_b32 v12, v12, 9, 0x7c00
	s_wait_alu 0xfffd
	s_delay_alu instid0(VALU_DEP_2) | instskip(SKIP_1) | instid1(VALU_DEP_2)
	v_cndmask_b32_e32 v7, v11, v15, vcc_lo
	v_and_b32_e32 v11, 7, v14
	v_and_or_b32 v7, 0x8000, v9, v7
	s_delay_alu instid0(VALU_DEP_2) | instskip(SKIP_2) | instid1(VALU_DEP_4)
	v_cmp_lt_i32_e32 vcc_lo, 5, v11
	v_cmp_eq_u32_e64 s1, 3, v11
	v_lshrrev_b32_e32 v11, 2, v14
	v_and_b32_e32 v7, 0xffff, v7
	s_delay_alu instid0(VALU_DEP_3) | instskip(SKIP_1) | instid1(VALU_DEP_2)
	s_or_b32 vcc_lo, s1, vcc_lo
	s_wait_alu 0xfffe
	v_add_co_ci_u32_e32 v11, vcc_lo, 0, v11, vcc_lo
	v_cmp_gt_i32_e32 vcc_lo, 31, v0
	s_wait_alu 0xfffd
	s_delay_alu instid0(VALU_DEP_2) | instskip(SKIP_2) | instid1(VALU_DEP_2)
	v_cndmask_b32_e32 v11, 0x7c00, v11, vcc_lo
	v_cmp_eq_u32_e32 vcc_lo, 0x40f, v0
	s_wait_alu 0xfffd
	v_cndmask_b32_e32 v0, v11, v12, vcc_lo
	v_add_co_u32 v14, vcc_lo, v16, s6
	s_wait_alu 0xfffd
	v_add_co_ci_u32_e32 v15, vcc_lo, s7, v17, vcc_lo
	s_delay_alu instid0(VALU_DEP_3)
	v_and_or_b32 v0, 0x8000, v10, v0
	ds_load_2addr_b32 v[9:10], v155 offset0:16 offset1:212
	v_lshl_or_b32 v0, v0, 16, v7
	global_store_b32 v[16:17], v0, off
	s_wait_dscnt 0x0
	v_lshrrev_b32_e32 v18, 16, v9
	v_mul_f16_e32 v0, v29, v9
	s_delay_alu instid0(VALU_DEP_1) | instskip(NEXT) | instid1(VALU_DEP_1)
	v_fma_f16 v0, v140, v18, -v0
	v_cvt_f32_f16_e32 v0, v0
	s_delay_alu instid0(VALU_DEP_1) | instskip(NEXT) | instid1(VALU_DEP_1)
	v_cvt_f64_f32_e32 v[11:12], v0
	v_mul_f64_e32 v[11:12], s[10:11], v[11:12]
	s_delay_alu instid0(VALU_DEP_1) | instskip(SKIP_2) | instid1(VALU_DEP_3)
	v_and_or_b32 v0, 0x1ff, v12, v11
	v_lshrrev_b32_e32 v7, 8, v12
	v_bfe_u32 v16, v12, 20, 11
	v_cmp_ne_u32_e32 vcc_lo, 0, v0
	s_wait_alu 0xfffd
	v_cndmask_b32_e64 v0, 0, 1, vcc_lo
	s_delay_alu instid0(VALU_DEP_1) | instskip(SKIP_1) | instid1(VALU_DEP_2)
	v_and_or_b32 v7, 0xffe, v7, v0
	v_sub_nc_u32_e32 v0, 0x3f1, v16
	v_or_b32_e32 v11, 0x1000, v7
	s_delay_alu instid0(VALU_DEP_2) | instskip(NEXT) | instid1(VALU_DEP_1)
	v_med3_i32 v0, v0, 0, 13
	v_lshrrev_b32_e32 v17, v0, v11
	s_delay_alu instid0(VALU_DEP_1) | instskip(NEXT) | instid1(VALU_DEP_1)
	v_lshlrev_b32_e32 v0, v0, v17
	v_cmp_ne_u32_e32 vcc_lo, v0, v11
	v_lshrrev_b32_e32 v11, 16, v4
	s_delay_alu instid0(VALU_DEP_1) | instskip(SKIP_1) | instid1(VALU_DEP_2)
	v_mul_f16_e32 v0, v19, v11
	v_mul_f16_e32 v19, v19, v4
	v_fmac_f16_e64 v0, v145, v4
	v_mul_f16_e32 v4, v30, v5
	s_delay_alu instid0(VALU_DEP_3) | instskip(NEXT) | instid1(VALU_DEP_3)
	v_fma_f16 v11, v145, v11, -v19
	v_cvt_f32_f16_e32 v0, v0
	s_delay_alu instid0(VALU_DEP_3) | instskip(NEXT) | instid1(VALU_DEP_3)
	v_fmac_f16_e32 v4, v117, v2
	v_cvt_f32_f16_e32 v11, v11
	s_delay_alu instid0(VALU_DEP_2) | instskip(NEXT) | instid1(VALU_DEP_1)
	v_cvt_f32_f16_e32 v2, v4
	v_cvt_f64_f32_e32 v[4:5], v2
	s_delay_alu instid0(VALU_DEP_1) | instskip(NEXT) | instid1(VALU_DEP_1)
	v_mul_f64_e32 v[4:5], s[10:11], v[4:5]
	v_and_or_b32 v2, 0x1ff, v5, v4
	v_lshrrev_b32_e32 v4, 8, v5
	s_delay_alu instid0(VALU_DEP_2) | instskip(SKIP_1) | instid1(VALU_DEP_1)
	v_cmp_ne_u32_e64 s1, 0, v2
	s_wait_alu 0xf1ff
	v_cndmask_b32_e64 v2, 0, 1, s1
	s_delay_alu instid0(VALU_DEP_1) | instskip(SKIP_2) | instid1(VALU_DEP_3)
	v_and_or_b32 v2, 0xffe, v4, v2
	v_bfe_u32 v4, v5, 20, 11
	v_lshrrev_b32_e32 v5, 16, v5
	v_or_b32_e32 v20, 0x1000, v2
	s_delay_alu instid0(VALU_DEP_3) | instskip(SKIP_1) | instid1(VALU_DEP_2)
	v_sub_nc_u32_e32 v19, 0x3f1, v4
	v_add_nc_u32_e32 v4, 0xfffffc10, v4
	v_med3_i32 v19, v19, 0, 13
	s_delay_alu instid0(VALU_DEP_1) | instskip(NEXT) | instid1(VALU_DEP_1)
	v_lshrrev_b32_e32 v22, v19, v20
	v_lshlrev_b32_e32 v19, v19, v22
	s_delay_alu instid0(VALU_DEP_1) | instskip(SKIP_2) | instid1(VALU_DEP_2)
	v_cmp_ne_u32_e64 s1, v19, v20
	v_lshl_or_b32 v20, v4, 12, v2
	s_wait_alu 0xf1ff
	v_cndmask_b32_e64 v19, 0, 1, s1
	v_cmp_gt_i32_e64 s1, 1, v4
	s_delay_alu instid0(VALU_DEP_2) | instskip(SKIP_1) | instid1(VALU_DEP_1)
	v_or_b32_e32 v19, v22, v19
	s_wait_alu 0xf1ff
	v_cndmask_b32_e64 v19, v20, v19, s1
	s_delay_alu instid0(VALU_DEP_1) | instskip(SKIP_1) | instid1(VALU_DEP_2)
	v_and_b32_e32 v20, 7, v19
	v_lshrrev_b32_e32 v19, 2, v19
	v_cmp_lt_i32_e64 s1, 5, v20
	v_cmp_eq_u32_e64 s2, 3, v20
	v_cndmask_b32_e64 v20, 0, 1, s0
	v_cmp_ne_u32_e64 s0, 0, v2
	v_add_nc_u32_e32 v2, 0xfffffc10, v26
	s_delay_alu instid0(VALU_DEP_4) | instskip(NEXT) | instid1(VALU_DEP_3)
	s_or_b32 s1, s2, s1
	v_or_b32_e32 v20, v27, v20
	s_wait_alu 0xfffe
	v_add_co_ci_u32_e64 v19, s1, 0, v19, s1
	v_lshl_or_b32 v22, v2, 12, v21
	v_cmp_gt_i32_e64 s3, 1, v2
	v_cmp_gt_i32_e64 s1, 31, v4
	v_cmp_ne_u32_e64 s2, 0, v21
	s_wait_alu 0xf1ff
	s_delay_alu instid0(VALU_DEP_3) | instskip(SKIP_3) | instid1(VALU_DEP_3)
	v_cndmask_b32_e64 v20, v22, v20, s3
	v_cndmask_b32_e64 v22, 0, 1, s0
	;; [unrolled: 1-line block ×3, first 2 shown]
	v_cmp_eq_u32_e64 s0, 0x40f, v4
	v_lshl_or_b32 v22, v22, 9, 0x7c00
	s_wait_alu 0xf1ff
	s_delay_alu instid0(VALU_DEP_1) | instskip(SKIP_1) | instid1(VALU_DEP_2)
	v_cndmask_b32_e64 v4, v19, v22, s0
	v_and_b32_e32 v19, 7, v20
	v_and_or_b32 v4, 0x8000, v5, v4
	s_delay_alu instid0(VALU_DEP_2) | instskip(SKIP_4) | instid1(VALU_DEP_4)
	v_cmp_lt_i32_e64 s0, 5, v19
	v_cmp_eq_u32_e64 s1, 3, v19
	v_lshrrev_b32_e32 v19, 2, v20
	v_cndmask_b32_e64 v20, 0, 1, s2
	v_and_b32_e32 v4, 0xffff, v4
	s_or_b32 s0, s1, s0
	s_wait_alu 0xfffe
	v_add_co_ci_u32_e64 v19, s0, 0, v19, s0
	v_cmp_gt_i32_e64 s0, 31, v2
	v_lshl_or_b32 v20, v20, 9, 0x7c00
	s_wait_alu 0xf1ff
	s_delay_alu instid0(VALU_DEP_2) | instskip(SKIP_2) | instid1(VALU_DEP_1)
	v_cndmask_b32_e64 v19, 0x7c00, v19, s0
	v_cmp_eq_u32_e64 s0, 0x40f, v2
	s_wait_alu 0xf1ff
	v_cndmask_b32_e64 v2, v19, v20, s0
	v_add_co_u32 v25, s0, v14, s6
	s_wait_alu 0xf1ff
	v_add_co_ci_u32_e64 v26, s0, s7, v15, s0
	s_delay_alu instid0(VALU_DEP_3) | instskip(NEXT) | instid1(VALU_DEP_1)
	v_and_or_b32 v2, 0x8000, v13, v2
	v_lshl_or_b32 v2, v2, 16, v4
	ds_load_2addr_b32 v[4:5], v150 offset0:32 offset1:228
	global_store_b32 v[14:15], v2, off
	s_wait_dscnt 0x0
	v_lshrrev_b32_e32 v23, 16, v4
	v_mul_f16_e32 v2, v31, v4
	s_delay_alu instid0(VALU_DEP_1) | instskip(SKIP_4) | instid1(VALU_DEP_2)
	v_fma_f16 v2, v123, v23, -v2
	v_mul_f16_e32 v23, v31, v23
	scratch_load_b32 v31, off, off offset:108 th:TH_LOAD_LU ; 4-byte Folded Reload
	v_cvt_f32_f16_e32 v2, v2
	v_fmac_f16_e32 v23, v123, v4
	v_cvt_f64_f32_e32 v[13:14], v2
	s_delay_alu instid0(VALU_DEP_2) | instskip(NEXT) | instid1(VALU_DEP_2)
	v_cvt_f32_f16_e32 v4, v23
	v_mul_f64_e32 v[14:15], s[10:11], v[13:14]
	s_delay_alu instid0(VALU_DEP_1)
	v_and_or_b32 v2, 0x1ff, v15, v14
	v_lshrrev_b32_e32 v13, 8, v15
	v_bfe_u32 v20, v15, 20, 11
	v_lshrrev_b32_e32 v14, 16, v141
	v_lshrrev_b32_e32 v15, 16, v15
	v_cmp_ne_u32_e64 s0, 0, v2
	s_wait_alu 0xf1ff
	s_delay_alu instid0(VALU_DEP_1) | instskip(NEXT) | instid1(VALU_DEP_1)
	v_cndmask_b32_e64 v2, 0, 1, s0
	v_and_or_b32 v19, 0xffe, v13, v2
	v_sub_nc_u32_e32 v2, 0x3f1, v20
	s_delay_alu instid0(VALU_DEP_2) | instskip(NEXT) | instid1(VALU_DEP_2)
	v_or_b32_e32 v13, 0x1000, v19
	v_med3_i32 v2, v2, 0, 13
	s_delay_alu instid0(VALU_DEP_1) | instskip(NEXT) | instid1(VALU_DEP_1)
	v_lshrrev_b32_e32 v22, v2, v13
	v_lshlrev_b32_e32 v2, v2, v22
	s_delay_alu instid0(VALU_DEP_1) | instskip(SKIP_1) | instid1(VALU_DEP_1)
	v_cmp_ne_u32_e64 s0, v2, v13
	v_lshrrev_b32_e32 v13, 16, v6
	v_mul_f16_e32 v2, v14, v13
	v_mul_f16_e32 v14, v14, v6
	s_delay_alu instid0(VALU_DEP_2) | instskip(NEXT) | instid1(VALU_DEP_2)
	v_fmac_f16_e64 v2, v141, v6
	v_fma_f16 v6, v141, v13, -v14
	v_cvt_f64_f32_e32 v[13:14], v11
	s_delay_alu instid0(VALU_DEP_3) | instskip(NEXT) | instid1(VALU_DEP_3)
	v_cvt_f32_f16_e32 v2, v2
	v_cvt_f32_f16_e32 v6, v6
	s_delay_alu instid0(VALU_DEP_3) | instskip(NEXT) | instid1(VALU_DEP_1)
	v_mul_f64_e32 v[13:14], s[10:11], v[13:14]
	v_and_or_b32 v11, 0x1ff, v14, v13
	v_lshrrev_b32_e32 v13, 8, v14
	v_bfe_u32 v21, v14, 20, 11
	s_delay_alu instid0(VALU_DEP_3) | instskip(SKIP_1) | instid1(VALU_DEP_1)
	v_cmp_ne_u32_e64 s1, 0, v11
	s_wait_alu 0xf1ff
	v_cndmask_b32_e64 v11, 0, 1, s1
	s_delay_alu instid0(VALU_DEP_1) | instskip(SKIP_1) | instid1(VALU_DEP_2)
	v_and_or_b32 v13, 0xffe, v13, v11
	v_sub_nc_u32_e32 v11, 0x3f1, v21
	v_or_b32_e32 v27, 0x1000, v13
	s_delay_alu instid0(VALU_DEP_2) | instskip(NEXT) | instid1(VALU_DEP_1)
	v_med3_i32 v11, v11, 0, 13
	v_lshrrev_b32_e32 v24, v11, v27
	s_delay_alu instid0(VALU_DEP_1) | instskip(NEXT) | instid1(VALU_DEP_1)
	v_lshlrev_b32_e32 v11, v11, v24
	v_cmp_ne_u32_e64 s1, v11, v27
	v_lshrrev_b32_e32 v27, 16, v8
	s_delay_alu instid0(VALU_DEP_1) | instskip(SKIP_1) | instid1(VALU_DEP_2)
	v_mul_f16_e32 v11, v28, v27
	v_mul_f16_e32 v28, v28, v8
	v_fmac_f16_e64 v11, v130, v8
	v_mul_f16_e32 v8, v29, v18
	s_delay_alu instid0(VALU_DEP_3) | instskip(NEXT) | instid1(VALU_DEP_2)
	v_fma_f16 v27, v130, v27, -v28
	v_fmac_f16_e64 v8, v140, v9
	s_delay_alu instid0(VALU_DEP_1) | instskip(NEXT) | instid1(VALU_DEP_1)
	v_cvt_f32_f16_e32 v8, v8
	v_cvt_f64_f32_e32 v[8:9], v8
	s_delay_alu instid0(VALU_DEP_1) | instskip(NEXT) | instid1(VALU_DEP_1)
	v_mul_f64_e32 v[8:9], s[10:11], v[8:9]
	v_and_or_b32 v8, 0x1ff, v9, v8
	v_lshrrev_b32_e32 v18, 8, v9
	s_delay_alu instid0(VALU_DEP_2) | instskip(SKIP_1) | instid1(VALU_DEP_1)
	v_cmp_ne_u32_e64 s2, 0, v8
	s_wait_alu 0xf1ff
	v_cndmask_b32_e64 v8, 0, 1, s2
	s_delay_alu instid0(VALU_DEP_1) | instskip(SKIP_2) | instid1(VALU_DEP_3)
	v_and_or_b32 v8, 0xffe, v18, v8
	v_bfe_u32 v18, v9, 20, 11
	v_lshrrev_b32_e32 v9, 16, v9
	v_or_b32_e32 v29, 0x1000, v8
	s_delay_alu instid0(VALU_DEP_3) | instskip(SKIP_1) | instid1(VALU_DEP_2)
	v_sub_nc_u32_e32 v28, 0x3f1, v18
	v_add_nc_u32_e32 v18, 0xfffffc10, v18
	v_med3_i32 v28, v28, 0, 13
	s_delay_alu instid0(VALU_DEP_1) | instskip(NEXT) | instid1(VALU_DEP_1)
	v_lshrrev_b32_e32 v30, v28, v29
	v_lshlrev_b32_e32 v28, v28, v30
	s_delay_alu instid0(VALU_DEP_1) | instskip(SKIP_2) | instid1(VALU_DEP_2)
	v_cmp_ne_u32_e64 s2, v28, v29
	v_lshl_or_b32 v29, v18, 12, v8
	s_wait_alu 0xf1ff
	v_cndmask_b32_e64 v28, 0, 1, s2
	v_cmp_gt_i32_e64 s2, 1, v18
	s_delay_alu instid0(VALU_DEP_2) | instskip(SKIP_3) | instid1(VALU_DEP_1)
	v_or_b32_e32 v28, v30, v28
	scratch_load_b32 v30, off, off offset:136 th:TH_LOAD_LU ; 4-byte Folded Reload
	s_wait_alu 0xf1ff
	v_cndmask_b32_e64 v28, v29, v28, s2
	v_and_b32_e32 v29, 7, v28
	s_delay_alu instid0(VALU_DEP_1)
	v_cmp_lt_i32_e64 s2, 5, v29
	v_cmp_eq_u32_e64 s3, 3, v29
	s_wait_alu 0xfffd
	v_cndmask_b32_e64 v29, 0, 1, vcc_lo
	v_cmp_ne_u32_e32 vcc_lo, 0, v8
	v_add_nc_u32_e32 v8, 0xfffffc10, v16
	s_or_b32 s2, s3, s2
	s_delay_alu instid0(VALU_DEP_3) | instskip(SKIP_1) | instid1(VALU_DEP_3)
	v_or_b32_e32 v17, v17, v29
	v_cmp_ne_u32_e64 s3, 0, v7
	v_lshl_or_b32 v16, v8, 12, v7
	v_cmp_gt_i32_e64 s4, 1, v8
	s_wait_alu 0xf1ff
	s_delay_alu instid0(VALU_DEP_1)
	v_cndmask_b32_e64 v16, v16, v17, s4
	v_lshrrev_b32_e32 v17, 2, v28
	s_wait_alu 0xfffd
	v_cndmask_b32_e64 v28, 0, 1, vcc_lo
	v_cmp_eq_u32_e32 vcc_lo, 0x40f, v18
	v_lshrrev_b32_e32 v7, 2, v16
	s_wait_alu 0xfffe
	v_add_co_ci_u32_e64 v17, s2, 0, v17, s2
	v_cmp_gt_i32_e64 s2, 31, v18
	v_lshl_or_b32 v28, v28, 9, 0x7c00
	v_and_b32_e32 v18, 7, v16
	v_cndmask_b32_e64 v16, 0, 1, s3
	s_wait_alu 0xf1ff
	v_cndmask_b32_e64 v17, 0x7c00, v17, s2
	s_delay_alu instid0(VALU_DEP_3) | instskip(NEXT) | instid1(VALU_DEP_3)
	v_cmp_eq_u32_e64 s2, 3, v18
	v_lshl_or_b32 v16, v16, 9, 0x7c00
	s_wait_alu 0xfffd
	s_delay_alu instid0(VALU_DEP_3) | instskip(SKIP_1) | instid1(VALU_DEP_2)
	v_cndmask_b32_e32 v17, v17, v28, vcc_lo
	v_cmp_lt_i32_e32 vcc_lo, 5, v18
	v_and_or_b32 v9, 0x8000, v9, v17
	s_or_b32 vcc_lo, s2, vcc_lo
	s_wait_alu 0xfffe
	v_add_co_ci_u32_e32 v7, vcc_lo, 0, v7, vcc_lo
	v_cmp_gt_i32_e32 vcc_lo, 31, v8
	s_wait_alu 0xfffd
	s_delay_alu instid0(VALU_DEP_2) | instskip(SKIP_3) | instid1(VALU_DEP_3)
	v_cndmask_b32_e32 v7, 0x7c00, v7, vcc_lo
	v_cmp_eq_u32_e32 vcc_lo, 0x40f, v8
	v_lshrrev_b32_e32 v8, 16, v12
	s_wait_alu 0xfffd
	v_cndmask_b32_e32 v7, v7, v16, vcc_lo
	v_add_co_u32 v16, vcc_lo, v25, s6
	s_wait_alu 0xfffd
	v_add_co_ci_u32_e32 v17, vcc_lo, s7, v26, vcc_lo
	s_delay_alu instid0(VALU_DEP_3) | instskip(SKIP_1) | instid1(VALU_DEP_1)
	v_and_or_b32 v7, 0x8000, v8, v7
	v_and_b32_e32 v8, 0xffff, v9
	v_lshl_or_b32 v7, v7, 16, v8
	global_store_b32 v[25:26], v7, off
	scratch_load_b32 v25, off, off offset:140 th:TH_LOAD_LU ; 4-byte Folded Reload
	v_cvt_f64_f32_e32 v[6:7], v6
	s_delay_alu instid0(VALU_DEP_1) | instskip(NEXT) | instid1(VALU_DEP_1)
	v_mul_f64_e32 v[6:7], s[10:11], v[6:7]
	v_and_or_b32 v6, 0x1ff, v7, v6
	v_lshrrev_b32_e32 v8, 8, v7
	v_bfe_u32 v9, v7, 20, 11
	v_lshrrev_b32_e32 v7, 16, v7
	s_delay_alu instid0(VALU_DEP_4) | instskip(SKIP_2) | instid1(VALU_DEP_1)
	v_cmp_ne_u32_e32 vcc_lo, 0, v6
	s_wait_alu 0xfffd
	v_cndmask_b32_e64 v6, 0, 1, vcc_lo
	v_and_or_b32 v8, 0xffe, v8, v6
	v_sub_nc_u32_e32 v6, 0x3f1, v9
	v_add_nc_u32_e32 v9, 0xfffffc10, v9
	s_delay_alu instid0(VALU_DEP_3) | instskip(NEXT) | instid1(VALU_DEP_3)
	v_or_b32_e32 v18, 0x1000, v8
	v_med3_i32 v6, v6, 0, 13
	s_delay_alu instid0(VALU_DEP_1) | instskip(NEXT) | instid1(VALU_DEP_1)
	v_lshrrev_b32_e32 v12, v6, v18
	v_lshlrev_b32_e32 v6, v6, v12
	s_delay_alu instid0(VALU_DEP_1) | instskip(SKIP_2) | instid1(VALU_DEP_1)
	v_cmp_ne_u32_e32 vcc_lo, v6, v18
	v_lshrrev_b32_e32 v18, 16, v1
	s_wait_loadcnt 0x0
	v_mul_f16_e32 v6, v25, v18
	s_delay_alu instid0(VALU_DEP_1) | instskip(SKIP_2) | instid1(VALU_DEP_1)
	v_fmac_f16_e32 v6, v30, v1
	v_mul_f16_e32 v1, v25, v1
	v_cvt_f64_f32_e32 v[25:26], v4
	v_mul_f64_e32 v[25:26], s[10:11], v[25:26]
	s_delay_alu instid0(VALU_DEP_1) | instskip(SKIP_1) | instid1(VALU_DEP_2)
	v_and_or_b32 v4, 0x1ff, v26, v25
	v_lshrrev_b32_e32 v23, 8, v26
	v_cmp_ne_u32_e64 s2, 0, v4
	s_wait_alu 0xf1ff
	s_delay_alu instid0(VALU_DEP_1) | instskip(NEXT) | instid1(VALU_DEP_1)
	v_cndmask_b32_e64 v4, 0, 1, s2
	v_and_or_b32 v4, 0xffe, v23, v4
	v_bfe_u32 v23, v26, 20, 11
	s_delay_alu instid0(VALU_DEP_2) | instskip(NEXT) | instid1(VALU_DEP_2)
	v_or_b32_e32 v28, 0x1000, v4
	v_sub_nc_u32_e32 v25, 0x3f1, v23
	v_add_nc_u32_e32 v23, 0xfffffc10, v23
	s_delay_alu instid0(VALU_DEP_2) | instskip(NEXT) | instid1(VALU_DEP_1)
	v_med3_i32 v25, v25, 0, 13
	v_lshrrev_b32_e32 v29, v25, v28
	s_delay_alu instid0(VALU_DEP_1) | instskip(NEXT) | instid1(VALU_DEP_1)
	v_lshlrev_b32_e32 v25, v25, v29
	v_cmp_ne_u32_e64 s2, v25, v28
	v_lshl_or_b32 v28, v23, 12, v4
	s_wait_alu 0xf1ff
	s_delay_alu instid0(VALU_DEP_2) | instskip(SKIP_1) | instid1(VALU_DEP_2)
	v_cndmask_b32_e64 v25, 0, 1, s2
	v_cmp_gt_i32_e64 s2, 1, v23
	v_or_b32_e32 v25, v29, v25
	scratch_load_b32 v29, off, off offset:88 th:TH_LOAD_LU ; 4-byte Folded Reload
	s_wait_alu 0xf1ff
	v_cndmask_b32_e64 v25, v28, v25, s2
	s_delay_alu instid0(VALU_DEP_1) | instskip(NEXT) | instid1(VALU_DEP_1)
	v_and_b32_e32 v28, 7, v25
	v_cmp_lt_i32_e64 s2, 5, v28
	v_cmp_eq_u32_e64 s3, 3, v28
	v_cndmask_b32_e64 v28, 0, 1, s0
	v_cmp_ne_u32_e64 s0, 0, v4
	v_add_nc_u32_e32 v4, 0xfffffc10, v20
	s_delay_alu instid0(VALU_DEP_4) | instskip(NEXT) | instid1(VALU_DEP_3)
	s_or_b32 s2, s3, s2
	v_or_b32_e32 v22, v22, v28
	v_cmp_ne_u32_e64 s3, 0, v19
	s_delay_alu instid0(VALU_DEP_3)
	v_lshl_or_b32 v20, v4, 12, v19
	v_cmp_gt_i32_e64 s4, 1, v4
	scratch_load_b32 v28, off, off offset:100 th:TH_LOAD_LU ; 4-byte Folded Reload
	s_wait_alu 0xf1ff
	v_cndmask_b32_e64 v20, v20, v22, s4
	v_lshrrev_b32_e32 v22, 2, v25
	v_cndmask_b32_e64 v25, 0, 1, s0
	v_cmp_eq_u32_e64 s0, 0x40f, v23
	s_delay_alu instid0(VALU_DEP_4)
	v_lshrrev_b32_e32 v19, 2, v20
	s_wait_alu 0xfffe
	v_add_co_ci_u32_e64 v22, s2, 0, v22, s2
	v_cmp_gt_i32_e64 s2, 31, v23
	v_lshl_or_b32 v25, v25, 9, 0x7c00
	v_lshrrev_b32_e32 v23, 16, v26
	s_wait_alu 0xf1ff
	s_delay_alu instid0(VALU_DEP_3) | instskip(NEXT) | instid1(VALU_DEP_1)
	v_cndmask_b32_e64 v22, 0x7c00, v22, s2
	v_cndmask_b32_e64 v22, v22, v25, s0
	v_and_b32_e32 v25, 7, v20
	v_cndmask_b32_e64 v20, 0, 1, s3
	s_delay_alu instid0(VALU_DEP_2) | instskip(SKIP_1) | instid1(VALU_DEP_3)
	v_cmp_lt_i32_e64 s0, 5, v25
	v_cmp_eq_u32_e64 s2, 3, v25
	v_lshl_or_b32 v20, v20, 9, 0x7c00
	s_delay_alu instid0(VALU_DEP_2) | instskip(SKIP_4) | instid1(VALU_DEP_1)
	s_or_b32 s0, s2, s0
	s_wait_alu 0xfffe
	v_add_co_ci_u32_e64 v19, s0, 0, v19, s0
	v_cmp_gt_i32_e64 s0, 31, v4
	s_wait_alu 0xf1ff
	v_cndmask_b32_e64 v19, 0x7c00, v19, s0
	v_cmp_eq_u32_e64 s0, 0x40f, v4
	s_wait_alu 0xf1ff
	s_delay_alu instid0(VALU_DEP_1) | instskip(SKIP_1) | instid1(VALU_DEP_2)
	v_cndmask_b32_e64 v4, v19, v20, s0
	v_and_or_b32 v19, 0x8000, v23, v22
	v_and_or_b32 v4, 0x8000, v15, v4
	s_delay_alu instid0(VALU_DEP_2)
	v_and_b32_e32 v15, 0xffff, v19
	v_fma_f16 v19, v30, v18, -v1
	v_cvt_f64_f32_e32 v[0:1], v0
	scratch_load_b32 v30, off, off offset:92 th:TH_LOAD_LU ; 4-byte Folded Reload
	v_lshl_or_b32 v4, v4, 16, v15
	v_add_co_u32 v15, s0, v16, s8
	global_store_b32 v[16:17], v4, off
	s_wait_alu 0xf1ff
	v_add_co_ci_u32_e64 v16, s0, s9, v17, s0
	v_mul_f64_e32 v[0:1], s[10:11], v[0:1]
	s_delay_alu instid0(VALU_DEP_1) | instskip(SKIP_1) | instid1(VALU_DEP_2)
	v_and_or_b32 v0, 0x1ff, v1, v0
	v_lshrrev_b32_e32 v4, 8, v1
	v_cmp_ne_u32_e64 s0, 0, v0
	s_wait_alu 0xf1ff
	s_delay_alu instid0(VALU_DEP_1) | instskip(NEXT) | instid1(VALU_DEP_1)
	v_cndmask_b32_e64 v0, 0, 1, s0
	v_and_or_b32 v0, 0xffe, v4, v0
	v_bfe_u32 v4, v1, 20, 11
	v_lshrrev_b32_e32 v1, 16, v1
	s_delay_alu instid0(VALU_DEP_3) | instskip(NEXT) | instid1(VALU_DEP_3)
	v_or_b32_e32 v18, 0x1000, v0
	v_sub_nc_u32_e32 v17, 0x3f1, v4
	v_add_nc_u32_e32 v4, 0xfffffc10, v4
	s_delay_alu instid0(VALU_DEP_2) | instskip(NEXT) | instid1(VALU_DEP_1)
	v_med3_i32 v17, v17, 0, 13
	v_lshrrev_b32_e32 v20, v17, v18
	s_delay_alu instid0(VALU_DEP_1) | instskip(NEXT) | instid1(VALU_DEP_1)
	v_lshlrev_b32_e32 v17, v17, v20
	v_cmp_ne_u32_e64 s0, v17, v18
	v_lshl_or_b32 v18, v4, 12, v0
	s_wait_alu 0xf1ff
	s_delay_alu instid0(VALU_DEP_2) | instskip(SKIP_1) | instid1(VALU_DEP_2)
	v_cndmask_b32_e64 v17, 0, 1, s0
	v_cmp_gt_i32_e64 s0, 1, v4
	v_or_b32_e32 v17, v20, v17
	s_wait_alu 0xf1ff
	s_delay_alu instid0(VALU_DEP_1) | instskip(NEXT) | instid1(VALU_DEP_1)
	v_cndmask_b32_e64 v17, v18, v17, s0
	v_and_b32_e32 v18, 7, v17
	v_lshrrev_b32_e32 v17, 2, v17
	s_delay_alu instid0(VALU_DEP_2) | instskip(SKIP_4) | instid1(VALU_DEP_4)
	v_cmp_lt_i32_e64 s0, 5, v18
	v_cmp_eq_u32_e64 s2, 3, v18
	v_cndmask_b32_e64 v18, 0, 1, s1
	v_cmp_ne_u32_e64 s1, 0, v0
	v_add_nc_u32_e32 v0, 0xfffffc10, v21
	s_or_b32 s0, s2, s0
	s_delay_alu instid0(VALU_DEP_3)
	v_or_b32_e32 v18, v24, v18
	s_wait_alu 0xfffe
	v_add_co_ci_u32_e64 v17, s0, 0, v17, s0
	v_lshl_or_b32 v20, v0, 12, v13
	v_cmp_gt_i32_e64 s3, 1, v0
	v_cmp_gt_i32_e64 s0, 31, v4
	v_cmp_ne_u32_e64 s2, 0, v13
	scratch_load_b32 v24, off, off offset:120 th:TH_LOAD_LU ; 4-byte Folded Reload
	s_wait_alu 0xf1ff
	v_cndmask_b32_e64 v18, v20, v18, s3
	v_cndmask_b32_e64 v20, 0, 1, s1
	;; [unrolled: 1-line block ×3, first 2 shown]
	v_cmp_eq_u32_e64 s0, 0x40f, v4
	s_delay_alu instid0(VALU_DEP_4) | instskip(NEXT) | instid1(VALU_DEP_4)
	v_lshrrev_b32_e32 v13, 2, v18
	v_lshl_or_b32 v20, v20, 9, 0x7c00
	s_wait_alu 0xf1ff
	s_delay_alu instid0(VALU_DEP_1)
	v_cndmask_b32_e64 v4, v17, v20, s0
	v_and_b32_e32 v17, 7, v18
	scratch_load_b32 v20, off, off offset:124 th:TH_LOAD_LU ; 4-byte Folded Reload
	v_and_or_b32 v1, 0x8000, v1, v4
	v_cmp_lt_i32_e64 s0, 5, v17
	v_cmp_eq_u32_e64 s1, 3, v17
	v_cndmask_b32_e64 v17, 0, 1, s2
	s_delay_alu instid0(VALU_DEP_4) | instskip(NEXT) | instid1(VALU_DEP_3)
	v_and_b32_e32 v1, 0xffff, v1
	s_or_b32 s0, s1, s0
	s_delay_alu instid0(VALU_DEP_2) | instskip(SKIP_4) | instid1(VALU_DEP_1)
	v_lshl_or_b32 v17, v17, 9, 0x7c00
	s_wait_alu 0xfffe
	v_add_co_ci_u32_e64 v13, s0, 0, v13, s0
	v_cmp_gt_i32_e64 s0, 31, v0
	s_wait_alu 0xf1ff
	v_cndmask_b32_e64 v13, 0x7c00, v13, s0
	v_cmp_eq_u32_e64 s0, 0x40f, v0
	s_wait_alu 0xf1ff
	s_delay_alu instid0(VALU_DEP_1) | instskip(SKIP_4) | instid1(VALU_DEP_3)
	v_cndmask_b32_e64 v0, v13, v17, s0
	v_lshrrev_b32_e32 v13, 16, v14
	v_add_co_u32 v17, s0, v15, s6
	s_wait_alu 0xf1ff
	v_add_co_ci_u32_e64 v18, s0, s7, v16, s0
	v_and_or_b32 v0, 0x8000, v13, v0
	scratch_load_b32 v13, off, off offset:128 th:TH_LOAD_LU ; 4-byte Folded Reload
	v_lshl_or_b32 v0, v0, 16, v1
	global_store_b32 v[15:16], v0, off
	v_cvt_f32_f16_e32 v0, v27
	scratch_load_b32 v27, off, off offset:96 th:TH_LOAD_LU ; 4-byte Folded Reload
	v_cvt_f64_f32_e32 v[0:1], v0
	s_delay_alu instid0(VALU_DEP_1) | instskip(NEXT) | instid1(VALU_DEP_1)
	v_mul_f64_e32 v[15:16], s[10:11], v[0:1]
	v_and_or_b32 v0, 0x1ff, v16, v15
	v_lshrrev_b32_e32 v1, 8, v16
	v_bfe_u32 v22, v16, 20, 11
	s_delay_alu instid0(VALU_DEP_3) | instskip(SKIP_1) | instid1(VALU_DEP_1)
	v_cmp_ne_u32_e64 s0, 0, v0
	s_wait_alu 0xf1ff
	v_cndmask_b32_e64 v0, 0, 1, s0
	s_delay_alu instid0(VALU_DEP_1) | instskip(SKIP_1) | instid1(VALU_DEP_2)
	v_and_or_b32 v21, 0xffe, v1, v0
	v_sub_nc_u32_e32 v0, 0x3f1, v22
	v_or_b32_e32 v1, 0x1000, v21
	s_delay_alu instid0(VALU_DEP_2) | instskip(NEXT) | instid1(VALU_DEP_1)
	v_med3_i32 v0, v0, 0, 13
	v_lshrrev_b32_e32 v23, v0, v1
	s_delay_alu instid0(VALU_DEP_1) | instskip(NEXT) | instid1(VALU_DEP_1)
	v_lshlrev_b32_e32 v0, v0, v23
	v_cmp_ne_u32_e64 s1, v0, v1
	scratch_load_b32 v1, off, off offset:132 th:TH_LOAD_LU ; 4-byte Folded Reload
	v_lshrrev_b32_e32 v0, 16, v3
	s_wait_loadcnt 0x0
	s_delay_alu instid0(VALU_DEP_1) | instskip(SKIP_1) | instid1(VALU_DEP_2)
	v_mul_f16_e32 v4, v1, v0
	v_mul_f16_e32 v1, v1, v3
	v_fmac_f16_e32 v4, v13, v3
	s_delay_alu instid0(VALU_DEP_2) | instskip(SKIP_1) | instid1(VALU_DEP_1)
	v_fma_f16 v15, v13, v0, -v1
	v_cvt_f32_f16_e32 v0, v19
	v_cvt_f64_f32_e32 v[0:1], v0
	s_delay_alu instid0(VALU_DEP_1) | instskip(NEXT) | instid1(VALU_DEP_1)
	v_mul_f64_e32 v[0:1], s[10:11], v[0:1]
	v_and_or_b32 v0, 0x1ff, v1, v0
	v_lshrrev_b32_e32 v3, 8, v1
	v_bfe_u32 v13, v1, 20, 11
	v_lshrrev_b32_e32 v1, 16, v1
	s_delay_alu instid0(VALU_DEP_4) | instskip(SKIP_1) | instid1(VALU_DEP_1)
	v_cmp_ne_u32_e64 s0, 0, v0
	s_wait_alu 0xf1ff
	v_cndmask_b32_e64 v0, 0, 1, s0
	s_delay_alu instid0(VALU_DEP_1) | instskip(SKIP_2) | instid1(VALU_DEP_3)
	v_and_or_b32 v3, 0xffe, v3, v0
	v_sub_nc_u32_e32 v0, 0x3f1, v13
	v_add_nc_u32_e32 v13, 0xfffffc10, v13
	v_or_b32_e32 v19, 0x1000, v3
	s_delay_alu instid0(VALU_DEP_3) | instskip(NEXT) | instid1(VALU_DEP_1)
	v_med3_i32 v0, v0, 0, 13
	v_lshrrev_b32_e32 v14, v0, v19
	s_delay_alu instid0(VALU_DEP_1) | instskip(NEXT) | instid1(VALU_DEP_1)
	v_lshlrev_b32_e32 v0, v0, v14
	v_cmp_ne_u32_e64 s0, v0, v19
	v_lshrrev_b32_e32 v19, 16, v10
	s_delay_alu instid0(VALU_DEP_1) | instskip(SKIP_1) | instid1(VALU_DEP_2)
	v_mul_f16_e32 v0, v20, v19
	v_mul_f16_e32 v20, v20, v10
	v_fmac_f16_e32 v0, v24, v10
	s_delay_alu instid0(VALU_DEP_2) | instskip(SKIP_1) | instid1(VALU_DEP_3)
	v_fma_f16 v24, v24, v19, -v20
	v_cvt_f64_f32_e32 v[19:20], v2
	v_cvt_f32_f16_e32 v0, v0
	s_delay_alu instid0(VALU_DEP_2) | instskip(NEXT) | instid1(VALU_DEP_1)
	v_mul_f64_e32 v[19:20], s[10:11], v[19:20]
	v_and_or_b32 v2, 0x1ff, v20, v19
	v_lshrrev_b32_e32 v10, 8, v20
	s_delay_alu instid0(VALU_DEP_2) | instskip(SKIP_1) | instid1(VALU_DEP_1)
	v_cmp_ne_u32_e64 s2, 0, v2
	s_wait_alu 0xf1ff
	v_cndmask_b32_e64 v2, 0, 1, s2
	s_delay_alu instid0(VALU_DEP_1) | instskip(SKIP_1) | instid1(VALU_DEP_2)
	v_and_or_b32 v2, 0xffe, v10, v2
	v_bfe_u32 v10, v20, 20, 11
	v_or_b32_e32 v25, 0x1000, v2
	s_delay_alu instid0(VALU_DEP_2) | instskip(SKIP_2) | instid1(VALU_DEP_3)
	v_sub_nc_u32_e32 v19, 0x3f1, v10
	v_add_nc_u32_e32 v10, 0xfffffc10, v10
	v_cmp_ne_u32_e64 s4, 0, v2
	v_med3_i32 v19, v19, 0, 13
	s_delay_alu instid0(VALU_DEP_1) | instskip(NEXT) | instid1(VALU_DEP_1)
	v_lshrrev_b32_e32 v26, v19, v25
	v_lshlrev_b32_e32 v19, v19, v26
	s_delay_alu instid0(VALU_DEP_1)
	v_cmp_ne_u32_e64 s2, v19, v25
	v_lshl_or_b32 v25, v10, 12, v2
	s_wait_alu 0xfffd
	v_cndmask_b32_e64 v2, 0, 1, vcc_lo
	v_cmp_gt_i32_e32 vcc_lo, 1, v9
	s_wait_alu 0xf1ff
	v_cndmask_b32_e64 v19, 0, 1, s2
	v_cmp_gt_i32_e64 s2, 1, v10
	v_or_b32_e32 v2, v12, v2
	v_lshl_or_b32 v12, v9, 12, v8
	s_delay_alu instid0(VALU_DEP_4)
	v_or_b32_e32 v19, v26, v19
	scratch_load_b32 v26, off, off offset:104 th:TH_LOAD_LU ; 4-byte Folded Reload
	s_wait_alu 0xfffd
	v_cndmask_b32_e32 v2, v12, v2, vcc_lo
	s_wait_alu 0xf1ff
	v_cndmask_b32_e64 v19, v25, v19, s2
	s_delay_alu instid0(VALU_DEP_1) | instskip(SKIP_2) | instid1(VALU_DEP_3)
	v_and_b32_e32 v25, 7, v19
	v_lshrrev_b32_e32 v12, 2, v19
	v_cndmask_b32_e64 v19, 0, 1, s4
	v_cmp_lt_i32_e64 s2, 5, v25
	v_cmp_eq_u32_e64 s3, 3, v25
	s_delay_alu instid0(VALU_DEP_3) | instskip(NEXT) | instid1(VALU_DEP_2)
	v_lshl_or_b32 v19, v19, 9, 0x7c00
	s_or_b32 vcc_lo, s3, s2
	v_cmp_ne_u32_e64 s3, 0, v8
	s_wait_alu 0xfffe
	v_add_co_ci_u32_e32 v12, vcc_lo, 0, v12, vcc_lo
	v_cmp_gt_i32_e32 vcc_lo, 31, v10
	s_wait_alu 0xf1ff
	v_cndmask_b32_e64 v8, 0, 1, s3
	s_wait_alu 0xfffd
	v_cndmask_b32_e32 v12, 0x7c00, v12, vcc_lo
	v_cmp_eq_u32_e32 vcc_lo, 0x40f, v10
	s_delay_alu instid0(VALU_DEP_3) | instskip(SKIP_1) | instid1(VALU_DEP_3)
	v_lshl_or_b32 v8, v8, 9, 0x7c00
	s_wait_alu 0xfffd
	v_dual_cndmask_b32 v10, v12, v19 :: v_dual_and_b32 v19, 7, v2
	v_lshrrev_b32_e32 v2, 2, v2
	v_lshrrev_b32_e32 v12, 16, v20
	s_delay_alu instid0(VALU_DEP_3) | instskip(SKIP_1) | instid1(VALU_DEP_1)
	v_cmp_lt_i32_e32 vcc_lo, 5, v19
	v_cmp_eq_u32_e64 s2, 3, v19
	s_or_b32 vcc_lo, s2, vcc_lo
	s_wait_alu 0xfffe
	v_add_co_ci_u32_e32 v2, vcc_lo, 0, v2, vcc_lo
	v_cmp_gt_i32_e32 vcc_lo, 31, v9
	s_wait_alu 0xfffd
	s_delay_alu instid0(VALU_DEP_2) | instskip(SKIP_2) | instid1(VALU_DEP_2)
	v_cndmask_b32_e32 v2, 0x7c00, v2, vcc_lo
	v_cmp_eq_u32_e32 vcc_lo, 0x40f, v9
	s_wait_alu 0xfffd
	v_cndmask_b32_e32 v2, v2, v8, vcc_lo
	v_and_or_b32 v8, 0x8000, v12, v10
	s_delay_alu instid0(VALU_DEP_2) | instskip(NEXT) | instid1(VALU_DEP_2)
	v_and_or_b32 v2, 0x8000, v7, v2
	v_and_b32_e32 v7, 0xffff, v8
	s_delay_alu instid0(VALU_DEP_1)
	v_lshl_or_b32 v2, v2, 16, v7
	v_add_co_u32 v7, vcc_lo, v17, s6
	s_wait_alu 0xfffd
	v_add_co_ci_u32_e32 v8, vcc_lo, s7, v18, vcc_lo
	global_store_b32 v[17:18], v2, off
	v_cvt_f32_f16_e32 v2, v11
	s_delay_alu instid0(VALU_DEP_1) | instskip(NEXT) | instid1(VALU_DEP_1)
	v_cvt_f64_f32_e32 v[9:10], v2
	v_mul_f64_e32 v[9:10], s[10:11], v[9:10]
	s_delay_alu instid0(VALU_DEP_1) | instskip(SKIP_1) | instid1(VALU_DEP_2)
	v_and_or_b32 v2, 0x1ff, v10, v9
	v_lshrrev_b32_e32 v9, 8, v10
	v_cmp_ne_u32_e32 vcc_lo, 0, v2
	s_wait_alu 0xfffd
	v_cndmask_b32_e64 v2, 0, 1, vcc_lo
	s_delay_alu instid0(VALU_DEP_1) | instskip(SKIP_1) | instid1(VALU_DEP_2)
	v_and_or_b32 v2, 0xffe, v9, v2
	v_bfe_u32 v9, v10, 20, 11
	v_or_b32_e32 v12, 0x1000, v2
	s_delay_alu instid0(VALU_DEP_2) | instskip(SKIP_2) | instid1(VALU_DEP_3)
	v_sub_nc_u32_e32 v11, 0x3f1, v9
	v_add_nc_u32_e32 v9, 0xfffffc10, v9
	v_cmp_ne_u32_e64 s2, 0, v2
	v_med3_i32 v11, v11, 0, 13
	s_delay_alu instid0(VALU_DEP_1) | instskip(NEXT) | instid1(VALU_DEP_1)
	v_lshrrev_b32_e32 v17, v11, v12
	v_lshlrev_b32_e32 v11, v11, v17
	s_delay_alu instid0(VALU_DEP_1) | instskip(SKIP_4) | instid1(VALU_DEP_2)
	v_cmp_ne_u32_e32 vcc_lo, v11, v12
	v_lshl_or_b32 v12, v9, 12, v2
	s_wait_alu 0xfffd
	v_cndmask_b32_e64 v11, 0, 1, vcc_lo
	v_cmp_gt_i32_e32 vcc_lo, 1, v9
	v_or_b32_e32 v11, v17, v11
	v_add_nc_u32_e32 v17, 0xfffffc10, v22
	s_wait_alu 0xfffd
	s_delay_alu instid0(VALU_DEP_2) | instskip(SKIP_1) | instid1(VALU_DEP_3)
	v_cndmask_b32_e32 v11, v12, v11, vcc_lo
	v_cndmask_b32_e64 v12, 0, 1, s1
	v_lshl_or_b32 v18, v17, 12, v21
	v_cmp_gt_i32_e32 vcc_lo, 1, v17
	s_delay_alu instid0(VALU_DEP_3) | instskip(SKIP_1) | instid1(VALU_DEP_1)
	v_or_b32_e32 v12, v23, v12
	s_wait_alu 0xfffd
	v_cndmask_b32_e32 v12, v18, v12, vcc_lo
	v_and_b32_e32 v18, 7, v11
	s_delay_alu instid0(VALU_DEP_2) | instskip(NEXT) | instid1(VALU_DEP_2)
	v_and_b32_e32 v2, 7, v12
	v_cmp_lt_i32_e32 vcc_lo, 5, v18
	v_cmp_eq_u32_e64 s1, 3, v18
	s_delay_alu instid0(VALU_DEP_3) | instskip(SKIP_2) | instid1(VALU_DEP_4)
	v_cmp_lt_i32_e64 s3, 5, v2
	v_cmp_eq_u32_e64 s4, 3, v2
	v_lshrrev_b32_e32 v2, 2, v11
	s_or_b32 vcc_lo, s1, vcc_lo
	v_cndmask_b32_e64 v11, 0, 1, s2
	s_delay_alu instid0(VALU_DEP_3)
	s_or_b32 s1, s4, s3
	s_wait_alu 0xfffe
	v_add_co_ci_u32_e32 v2, vcc_lo, 0, v2, vcc_lo
	v_cmp_gt_i32_e32 vcc_lo, 31, v9
	v_lshl_or_b32 v11, v11, 9, 0x7c00
	s_wait_alu 0xfffd
	s_delay_alu instid0(VALU_DEP_3)
	v_cndmask_b32_e32 v2, 0x7c00, v2, vcc_lo
	v_cmp_eq_u32_e32 vcc_lo, 0x40f, v9
	v_lshrrev_b32_e32 v9, 16, v10
	v_lshrrev_b32_e32 v10, 2, v12
	scratch_load_b32 v12, off, off offset:112 th:TH_LOAD_LU ; 4-byte Folded Reload
	s_wait_alu 0xfffd
	v_cndmask_b32_e32 v2, v2, v11, vcc_lo
	v_cmp_ne_u32_e32 vcc_lo, 0, v21
	v_add_co_ci_u32_e64 v10, s1, 0, v10, s1
	v_cmp_gt_i32_e64 s1, 31, v17
	s_delay_alu instid0(VALU_DEP_4)
	v_and_or_b32 v2, 0x8000, v9, v2
	s_wait_alu 0xfffd
	v_cndmask_b32_e64 v11, 0, 1, vcc_lo
	v_cmp_eq_u32_e32 vcc_lo, 0x40f, v17
	s_wait_alu 0xf1ff
	v_cndmask_b32_e64 v10, 0x7c00, v10, s1
	v_and_b32_e32 v2, 0xffff, v2
	v_lshl_or_b32 v11, v11, 9, 0x7c00
	s_wait_alu 0xfffd
	s_delay_alu instid0(VALU_DEP_1) | instskip(SKIP_1) | instid1(VALU_DEP_1)
	v_cndmask_b32_e32 v10, v10, v11, vcc_lo
	v_lshrrev_b32_e32 v11, 16, v16
	v_and_or_b32 v9, 0x8000, v11, v10
	scratch_load_b32 v11, off, off offset:116 th:TH_LOAD_LU ; 4-byte Folded Reload
	v_lshl_or_b32 v2, v9, 16, v2
	v_add_co_u32 v9, vcc_lo, v7, s6
	s_wait_alu 0xfffd
	v_add_co_ci_u32_e32 v10, vcc_lo, s7, v8, vcc_lo
	global_store_b32 v[7:8], v2, off
	v_cvt_f32_f16_e32 v2, v15
	s_delay_alu instid0(VALU_DEP_1) | instskip(NEXT) | instid1(VALU_DEP_1)
	v_cvt_f64_f32_e32 v[7:8], v2
	v_mul_f64_e32 v[7:8], s[10:11], v[7:8]
	s_delay_alu instid0(VALU_DEP_1) | instskip(SKIP_2) | instid1(VALU_DEP_3)
	v_and_or_b32 v2, 0x1ff, v8, v7
	v_lshrrev_b32_e32 v7, 8, v8
	v_bfe_u32 v16, v8, 20, 11
	v_cmp_ne_u32_e32 vcc_lo, 0, v2
	s_wait_alu 0xfffd
	v_cndmask_b32_e64 v2, 0, 1, vcc_lo
	s_delay_alu instid0(VALU_DEP_1) | instskip(SKIP_1) | instid1(VALU_DEP_2)
	v_and_or_b32 v15, 0xffe, v7, v2
	v_sub_nc_u32_e32 v2, 0x3f1, v16
	v_or_b32_e32 v7, 0x1000, v15
	s_delay_alu instid0(VALU_DEP_2) | instskip(NEXT) | instid1(VALU_DEP_1)
	v_med3_i32 v2, v2, 0, 13
	v_lshrrev_b32_e32 v17, v2, v7
	s_delay_alu instid0(VALU_DEP_1) | instskip(NEXT) | instid1(VALU_DEP_1)
	v_lshlrev_b32_e32 v2, v2, v17
	v_cmp_ne_u32_e32 vcc_lo, v2, v7
	v_lshrrev_b32_e32 v2, 16, v5
	s_wait_loadcnt 0x0
	s_delay_alu instid0(VALU_DEP_1) | instskip(SKIP_1) | instid1(VALU_DEP_2)
	v_mul_f16_e32 v7, v11, v2
	v_mul_f16_e32 v11, v11, v5
	v_fmac_f16_e32 v7, v12, v5
	s_delay_alu instid0(VALU_DEP_2) | instskip(SKIP_1) | instid1(VALU_DEP_1)
	v_fma_f16 v18, v12, v2, -v11
	v_cvt_f32_f16_e32 v2, v6
	v_cvt_f64_f32_e32 v[5:6], v2
	s_delay_alu instid0(VALU_DEP_1) | instskip(NEXT) | instid1(VALU_DEP_1)
	v_mul_f64_e32 v[5:6], s[10:11], v[5:6]
	v_and_or_b32 v2, 0x1ff, v6, v5
	v_lshrrev_b32_e32 v5, 8, v6
	s_delay_alu instid0(VALU_DEP_2) | instskip(SKIP_1) | instid1(VALU_DEP_1)
	v_cmp_ne_u32_e64 s1, 0, v2
	s_wait_alu 0xf1ff
	v_cndmask_b32_e64 v2, 0, 1, s1
	s_delay_alu instid0(VALU_DEP_1) | instskip(SKIP_1) | instid1(VALU_DEP_2)
	v_and_or_b32 v2, 0xffe, v5, v2
	v_bfe_u32 v5, v6, 20, 11
	v_or_b32_e32 v12, 0x1000, v2
	s_delay_alu instid0(VALU_DEP_2) | instskip(SKIP_2) | instid1(VALU_DEP_3)
	v_sub_nc_u32_e32 v11, 0x3f1, v5
	v_add_nc_u32_e32 v5, 0xfffffc10, v5
	v_cmp_ne_u32_e64 s2, 0, v2
	v_med3_i32 v11, v11, 0, 13
	s_delay_alu instid0(VALU_DEP_1) | instskip(NEXT) | instid1(VALU_DEP_1)
	v_lshrrev_b32_e32 v19, v11, v12
	v_lshlrev_b32_e32 v11, v11, v19
	s_delay_alu instid0(VALU_DEP_1) | instskip(SKIP_2) | instid1(VALU_DEP_2)
	v_cmp_ne_u32_e64 s1, v11, v12
	v_lshl_or_b32 v12, v5, 12, v2
	s_wait_alu 0xf1ff
	v_cndmask_b32_e64 v11, 0, 1, s1
	v_cmp_gt_i32_e64 s1, 1, v5
	s_delay_alu instid0(VALU_DEP_2) | instskip(SKIP_1) | instid1(VALU_DEP_1)
	v_or_b32_e32 v11, v19, v11
	s_wait_alu 0xf1ff
	v_cndmask_b32_e64 v11, v12, v11, s1
	v_cndmask_b32_e64 v12, 0, 1, s0
	v_cmp_gt_i32_e64 s0, 1, v13
	s_delay_alu instid0(VALU_DEP_2) | instskip(SKIP_2) | instid1(VALU_DEP_1)
	v_or_b32_e32 v12, v14, v12
	v_lshl_or_b32 v14, v13, 12, v3
	s_wait_alu 0xf1ff
	v_cndmask_b32_e64 v12, v14, v12, s0
	v_and_b32_e32 v14, 7, v11
	s_delay_alu instid0(VALU_DEP_2) | instskip(NEXT) | instid1(VALU_DEP_2)
	v_and_b32_e32 v2, 7, v12
	v_cmp_lt_i32_e64 s0, 5, v14
	v_cmp_eq_u32_e64 s1, 3, v14
	s_delay_alu instid0(VALU_DEP_3) | instskip(SKIP_2) | instid1(VALU_DEP_4)
	v_cmp_lt_i32_e64 s3, 5, v2
	v_cmp_eq_u32_e64 s4, 3, v2
	v_lshrrev_b32_e32 v2, 2, v11
	s_or_b32 s0, s1, s0
	v_cndmask_b32_e64 v11, 0, 1, s2
	s_delay_alu instid0(VALU_DEP_3)
	s_or_b32 s1, s4, s3
	s_wait_alu 0xfffe
	v_add_co_ci_u32_e64 v2, s0, 0, v2, s0
	v_cmp_gt_i32_e64 s0, 31, v5
	v_lshl_or_b32 v11, v11, 9, 0x7c00
	s_wait_alu 0xf1ff
	s_delay_alu instid0(VALU_DEP_2) | instskip(SKIP_3) | instid1(VALU_DEP_2)
	v_cndmask_b32_e64 v2, 0x7c00, v2, s0
	v_cmp_eq_u32_e64 s0, 0x40f, v5
	v_lshrrev_b32_e32 v5, 2, v12
	s_wait_alu 0xf1ff
	v_cndmask_b32_e64 v2, v2, v11, s0
	v_cmp_ne_u32_e64 s0, 0, v3
	s_delay_alu instid0(VALU_DEP_3)
	v_add_co_ci_u32_e64 v5, s1, 0, v5, s1
	v_lshrrev_b32_e32 v3, 16, v6
	v_cmp_gt_i32_e64 s1, 31, v13
	s_wait_alu 0xf1ff
	v_cndmask_b32_e64 v6, 0, 1, s0
	v_cmp_eq_u32_e64 s0, 0x40f, v13
	v_and_or_b32 v2, 0x8000, v3, v2
	v_cndmask_b32_e64 v5, 0x7c00, v5, s1
	s_delay_alu instid0(VALU_DEP_4) | instskip(NEXT) | instid1(VALU_DEP_3)
	v_lshl_or_b32 v6, v6, 9, 0x7c00
	v_and_b32_e32 v2, 0xffff, v2
	s_wait_alu 0xf1ff
	s_delay_alu instid0(VALU_DEP_2) | instskip(SKIP_3) | instid1(VALU_DEP_3)
	v_cndmask_b32_e64 v5, v5, v6, s0
	v_add_co_u32 v11, s0, v9, s6
	s_wait_alu 0xf1ff
	v_add_co_ci_u32_e64 v12, s0, s7, v10, s0
	v_and_or_b32 v1, 0x8000, v1, v5
	s_delay_alu instid0(VALU_DEP_1) | instskip(SKIP_2) | instid1(VALU_DEP_1)
	v_lshl_or_b32 v1, v1, 16, v2
	global_store_b32 v[9:10], v1, off
	v_cvt_f32_f16_e32 v1, v24
	v_cvt_f64_f32_e32 v[1:2], v1
	s_delay_alu instid0(VALU_DEP_1) | instskip(NEXT) | instid1(VALU_DEP_1)
	v_mul_f64_e32 v[13:14], s[10:11], v[1:2]
	v_and_or_b32 v1, 0x1ff, v14, v13
	v_lshrrev_b32_e32 v2, 8, v14
	v_bfe_u32 v21, v14, 20, 11
	v_lshrrev_b32_e32 v14, 16, v14
	s_delay_alu instid0(VALU_DEP_4) | instskip(SKIP_1) | instid1(VALU_DEP_1)
	v_cmp_ne_u32_e64 s0, 0, v1
	s_wait_alu 0xf1ff
	v_cndmask_b32_e64 v1, 0, 1, s0
	s_delay_alu instid0(VALU_DEP_1) | instskip(SKIP_2) | instid1(VALU_DEP_3)
	v_and_or_b32 v13, 0xffe, v2, v1
	v_sub_nc_u32_e32 v1, 0x3f1, v21
	v_add_nc_u32_e32 v21, 0xfffffc10, v21
	v_or_b32_e32 v2, 0x1000, v13
	s_delay_alu instid0(VALU_DEP_3) | instskip(NEXT) | instid1(VALU_DEP_1)
	v_med3_i32 v1, v1, 0, 13
	v_lshrrev_b32_e32 v22, v1, v2
	s_delay_alu instid0(VALU_DEP_1) | instskip(NEXT) | instid1(VALU_DEP_1)
	v_lshlrev_b32_e32 v1, v1, v22
	v_cmp_ne_u32_e64 s1, v1, v2
	v_cvt_f32_f16_e32 v1, v18
	s_delay_alu instid0(VALU_DEP_1) | instskip(NEXT) | instid1(VALU_DEP_1)
	v_cvt_f64_f32_e32 v[1:2], v1
	v_mul_f64_e32 v[2:3], s[10:11], v[1:2]
	s_delay_alu instid0(VALU_DEP_1) | instskip(SKIP_3) | instid1(VALU_DEP_4)
	v_and_or_b32 v1, 0x1ff, v3, v2
	v_lshrrev_b32_e32 v2, 8, v3
	v_bfe_u32 v9, v3, 20, 11
	v_lshrrev_b32_e32 v3, 16, v3
	v_cmp_ne_u32_e64 s0, 0, v1
	s_wait_alu 0xf1ff
	s_delay_alu instid0(VALU_DEP_1) | instskip(NEXT) | instid1(VALU_DEP_1)
	v_cndmask_b32_e64 v1, 0, 1, s0
	v_and_or_b32 v6, 0xffe, v2, v1
	v_sub_nc_u32_e32 v1, 0x3f1, v9
	v_add_nc_u32_e32 v9, 0xfffffc10, v9
	s_delay_alu instid0(VALU_DEP_3) | instskip(NEXT) | instid1(VALU_DEP_3)
	v_or_b32_e32 v2, 0x1000, v6
	v_med3_i32 v1, v1, 0, 13
	s_delay_alu instid0(VALU_DEP_1) | instskip(NEXT) | instid1(VALU_DEP_1)
	v_lshrrev_b32_e32 v10, v1, v2
	v_lshlrev_b32_e32 v1, v1, v10
	s_delay_alu instid0(VALU_DEP_1) | instskip(SKIP_1) | instid1(VALU_DEP_1)
	v_cmp_ne_u32_e64 s0, v1, v2
	v_cvt_f32_f16_e32 v1, v4
	v_cvt_f64_f32_e32 v[1:2], v1
	s_delay_alu instid0(VALU_DEP_1) | instskip(NEXT) | instid1(VALU_DEP_1)
	v_mul_f64_e32 v[1:2], s[10:11], v[1:2]
	v_and_or_b32 v1, 0x1ff, v2, v1
	v_lshrrev_b32_e32 v4, 8, v2
	s_delay_alu instid0(VALU_DEP_2) | instskip(SKIP_1) | instid1(VALU_DEP_1)
	v_cmp_ne_u32_e64 s2, 0, v1
	s_wait_alu 0xf1ff
	v_cndmask_b32_e64 v1, 0, 1, s2
	s_delay_alu instid0(VALU_DEP_1) | instskip(SKIP_2) | instid1(VALU_DEP_3)
	v_and_or_b32 v1, 0xffe, v4, v1
	v_bfe_u32 v4, v2, 20, 11
	v_lshrrev_b32_e32 v2, 16, v2
	v_or_b32_e32 v18, 0x1000, v1
	s_delay_alu instid0(VALU_DEP_3) | instskip(SKIP_1) | instid1(VALU_DEP_2)
	v_sub_nc_u32_e32 v5, 0x3f1, v4
	v_add_nc_u32_e32 v4, 0xfffffc10, v4
	v_med3_i32 v5, v5, 0, 13
	s_delay_alu instid0(VALU_DEP_1) | instskip(NEXT) | instid1(VALU_DEP_1)
	v_lshrrev_b32_e32 v19, v5, v18
	v_lshlrev_b32_e32 v5, v5, v19
	s_delay_alu instid0(VALU_DEP_1) | instskip(SKIP_2) | instid1(VALU_DEP_2)
	v_cmp_ne_u32_e64 s2, v5, v18
	v_lshl_or_b32 v18, v4, 12, v1
	s_wait_alu 0xf1ff
	v_cndmask_b32_e64 v5, 0, 1, s2
	v_cmp_gt_i32_e64 s2, 1, v4
	s_delay_alu instid0(VALU_DEP_2) | instskip(SKIP_2) | instid1(VALU_DEP_2)
	v_or_b32_e32 v5, v19, v5
	v_cvt_f64_f32_e32 v[19:20], v0
	s_wait_alu 0xf1ff
	v_cndmask_b32_e64 v5, v18, v5, s2
	s_delay_alu instid0(VALU_DEP_1) | instskip(SKIP_1) | instid1(VALU_DEP_2)
	v_and_b32_e32 v18, 7, v5
	v_lshrrev_b32_e32 v5, 2, v5
	v_cmp_lt_i32_e64 s2, 5, v18
	v_cmp_eq_u32_e64 s3, 3, v18
	s_wait_alu 0xfffd
	v_cndmask_b32_e64 v18, 0, 1, vcc_lo
	v_cmp_ne_u32_e32 vcc_lo, 0, v1
	v_add_nc_u32_e32 v1, 0xfffffc10, v16
	s_or_b32 s2, s3, s2
	s_delay_alu instid0(VALU_DEP_3)
	v_or_b32_e32 v17, v17, v18
	s_wait_alu 0xfffe
	v_add_co_ci_u32_e64 v5, s2, 0, v5, s2
	v_lshl_or_b32 v16, v1, 12, v15
	v_cmp_gt_i32_e64 s4, 1, v1
	v_cmp_gt_i32_e64 s2, 31, v4
	v_cmp_ne_u32_e64 s3, 0, v15
	s_wait_alu 0xf1ff
	s_delay_alu instid0(VALU_DEP_3)
	v_cndmask_b32_e64 v16, v16, v17, s4
	s_wait_alu 0xfffd
	v_cndmask_b32_e64 v17, 0, 1, vcc_lo
	v_cndmask_b32_e64 v5, 0x7c00, v5, s2
	v_cmp_eq_u32_e32 vcc_lo, 0x40f, v4
	v_cndmask_b32_e64 v15, 0, 1, s3
	s_delay_alu instid0(VALU_DEP_4) | instskip(SKIP_1) | instid1(VALU_DEP_3)
	v_lshl_or_b32 v17, v17, 9, 0x7c00
	v_mul_f64_e32 v[19:20], s[10:11], v[19:20]
	v_lshl_or_b32 v15, v15, 9, 0x7c00
	s_wait_alu 0xfffd
	s_delay_alu instid0(VALU_DEP_3) | instskip(NEXT) | instid1(VALU_DEP_1)
	v_dual_cndmask_b32 v4, v5, v17 :: v_dual_and_b32 v5, 7, v16
	v_and_or_b32 v2, 0x8000, v2, v4
	s_delay_alu instid0(VALU_DEP_2) | instskip(SKIP_2) | instid1(VALU_DEP_4)
	v_cmp_lt_i32_e32 vcc_lo, 5, v5
	v_cmp_eq_u32_e64 s2, 3, v5
	v_lshrrev_b32_e32 v5, 2, v16
	v_and_b32_e32 v2, 0xffff, v2
	s_delay_alu instid0(VALU_DEP_3) | instskip(SKIP_1) | instid1(VALU_DEP_2)
	s_or_b32 vcc_lo, s2, vcc_lo
	s_wait_alu 0xfffe
	v_add_co_ci_u32_e32 v5, vcc_lo, 0, v5, vcc_lo
	v_cmp_gt_i32_e32 vcc_lo, 31, v1
	s_wait_alu 0xfffd
	s_delay_alu instid0(VALU_DEP_2) | instskip(SKIP_2) | instid1(VALU_DEP_2)
	v_cndmask_b32_e32 v5, 0x7c00, v5, vcc_lo
	v_cmp_eq_u32_e32 vcc_lo, 0x40f, v1
	s_wait_alu 0xfffd
	v_cndmask_b32_e32 v1, v5, v15, vcc_lo
	v_lshrrev_b32_e32 v5, 16, v8
	v_add_co_u32 v17, vcc_lo, v11, s6
	s_wait_alu 0xfffd
	v_add_co_ci_u32_e32 v18, vcc_lo, s7, v12, vcc_lo
	s_delay_alu instid0(VALU_DEP_3) | instskip(SKIP_1) | instid1(VALU_DEP_2)
	v_and_or_b32 v1, 0x8000, v5, v1
	v_and_or_b32 v0, 0x1ff, v20, v19
	v_lshl_or_b32 v1, v1, 16, v2
	s_delay_alu instid0(VALU_DEP_2)
	v_cmp_ne_u32_e64 s2, 0, v0
	global_store_b32 v[11:12], v1, off
	ds_load_2addr_b32 v[1:2], v124 offset0:8 offset1:204
	s_wait_alu 0xf1ff
	v_cndmask_b32_e64 v0, 0, 1, s2
	s_wait_dscnt 0x0
	v_lshrrev_b32_e32 v16, 16, v1
	v_mul_f16_e32 v4, v31, v1
	s_delay_alu instid0(VALU_DEP_1) | instskip(NEXT) | instid1(VALU_DEP_1)
	v_fma_f16 v4, v26, v16, -v4
	v_cvt_f32_f16_e32 v4, v4
	s_delay_alu instid0(VALU_DEP_1) | instskip(NEXT) | instid1(VALU_DEP_1)
	v_cvt_f64_f32_e32 v[4:5], v4
	v_mul_f64_e32 v[4:5], s[10:11], v[4:5]
	s_delay_alu instid0(VALU_DEP_1) | instskip(SKIP_3) | instid1(VALU_DEP_4)
	v_and_or_b32 v4, 0x1ff, v5, v4
	v_lshrrev_b32_e32 v8, 8, v5
	v_bfe_u32 v11, v5, 20, 11
	v_lshrrev_b32_e32 v5, 16, v5
	v_cmp_ne_u32_e32 vcc_lo, 0, v4
	s_wait_alu 0xfffd
	v_cndmask_b32_e64 v4, 0, 1, vcc_lo
	s_delay_alu instid0(VALU_DEP_1) | instskip(SKIP_2) | instid1(VALU_DEP_3)
	v_and_or_b32 v8, 0xffe, v8, v4
	v_sub_nc_u32_e32 v4, 0x3f1, v11
	v_add_nc_u32_e32 v11, 0xfffffc10, v11
	v_or_b32_e32 v15, 0x1000, v8
	s_delay_alu instid0(VALU_DEP_3) | instskip(NEXT) | instid1(VALU_DEP_1)
	v_med3_i32 v4, v4, 0, 13
	v_lshrrev_b32_e32 v12, v4, v15
	s_delay_alu instid0(VALU_DEP_1) | instskip(NEXT) | instid1(VALU_DEP_1)
	v_lshlrev_b32_e32 v4, v4, v12
	v_cmp_ne_u32_e32 vcc_lo, v4, v15
	v_lshrrev_b32_e32 v4, 8, v20
	s_delay_alu instid0(VALU_DEP_1) | instskip(SKIP_1) | instid1(VALU_DEP_2)
	v_and_or_b32 v0, 0xffe, v4, v0
	v_bfe_u32 v4, v20, 20, 11
	v_or_b32_e32 v19, 0x1000, v0
	s_delay_alu instid0(VALU_DEP_2) | instskip(SKIP_2) | instid1(VALU_DEP_3)
	v_sub_nc_u32_e32 v15, 0x3f1, v4
	v_add_nc_u32_e32 v4, 0xfffffc10, v4
	v_cmp_ne_u32_e64 s3, 0, v0
	v_med3_i32 v15, v15, 0, 13
	s_delay_alu instid0(VALU_DEP_1) | instskip(NEXT) | instid1(VALU_DEP_1)
	v_lshrrev_b32_e32 v23, v15, v19
	v_lshlrev_b32_e32 v15, v15, v23
	s_delay_alu instid0(VALU_DEP_1) | instskip(SKIP_2) | instid1(VALU_DEP_2)
	v_cmp_ne_u32_e64 s2, v15, v19
	v_lshl_or_b32 v19, v4, 12, v0
	s_wait_alu 0xf1ff
	v_cndmask_b32_e64 v15, 0, 1, s2
	v_cmp_gt_i32_e64 s2, 1, v4
	s_delay_alu instid0(VALU_DEP_2) | instskip(SKIP_1) | instid1(VALU_DEP_1)
	v_or_b32_e32 v15, v23, v15
	s_wait_alu 0xf1ff
	v_cndmask_b32_e64 v15, v19, v15, s2
	v_cndmask_b32_e64 v19, 0, 1, s1
	v_cmp_gt_i32_e64 s1, 1, v21
	s_delay_alu instid0(VALU_DEP_2) | instskip(SKIP_2) | instid1(VALU_DEP_1)
	v_or_b32_e32 v19, v22, v19
	v_lshl_or_b32 v22, v21, 12, v13
	s_wait_alu 0xf1ff
	v_cndmask_b32_e64 v19, v22, v19, s1
	v_and_b32_e32 v22, 7, v15
	s_delay_alu instid0(VALU_DEP_2) | instskip(NEXT) | instid1(VALU_DEP_2)
	v_and_b32_e32 v0, 7, v19
	v_cmp_lt_i32_e64 s1, 5, v22
	v_cmp_eq_u32_e64 s2, 3, v22
	s_delay_alu instid0(VALU_DEP_3) | instskip(SKIP_2) | instid1(VALU_DEP_4)
	v_cmp_lt_i32_e64 s4, 5, v0
	v_cmp_eq_u32_e64 s5, 3, v0
	v_lshrrev_b32_e32 v0, 2, v15
	s_or_b32 s1, s2, s1
	v_cndmask_b32_e64 v15, 0, 1, s3
	s_delay_alu instid0(VALU_DEP_3)
	s_or_b32 s2, s5, s4
	s_wait_alu 0xfffe
	v_add_co_ci_u32_e64 v0, s1, 0, v0, s1
	v_cmp_gt_i32_e64 s1, 31, v4
	v_lshl_or_b32 v15, v15, 9, 0x7c00
	v_cmp_ne_u32_e64 s5, 0, v6
	s_wait_alu 0xf1ff
	s_delay_alu instid0(VALU_DEP_3) | instskip(SKIP_3) | instid1(VALU_DEP_2)
	v_cndmask_b32_e64 v0, 0x7c00, v0, s1
	v_cmp_eq_u32_e64 s1, 0x40f, v4
	v_lshrrev_b32_e32 v4, 16, v20
	s_wait_alu 0xf1ff
	v_cndmask_b32_e64 v0, v0, v15, s1
	v_cmp_ne_u32_e64 s1, 0, v13
	v_lshrrev_b32_e32 v13, 2, v19
	s_delay_alu instid0(VALU_DEP_3) | instskip(SKIP_1) | instid1(VALU_DEP_3)
	v_and_or_b32 v0, 0x8000, v4, v0
	s_wait_alu 0xf1ff
	v_cndmask_b32_e64 v15, 0, 1, s1
	s_delay_alu instid0(VALU_DEP_3) | instskip(SKIP_2) | instid1(VALU_DEP_4)
	v_add_co_ci_u32_e64 v13, s2, 0, v13, s2
	v_cmp_gt_i32_e64 s2, 31, v21
	v_cmp_eq_u32_e64 s1, 0x40f, v21
	v_lshl_or_b32 v15, v15, 9, 0x7c00
	v_and_b32_e32 v0, 0xffff, v0
	s_wait_alu 0xf1ff
	v_cndmask_b32_e64 v13, 0x7c00, v13, s2
	s_delay_alu instid0(VALU_DEP_1) | instskip(NEXT) | instid1(VALU_DEP_1)
	v_cndmask_b32_e64 v13, v13, v15, s1
	v_and_or_b32 v4, 0x8000, v14, v13
	v_add_co_u32 v13, s1, v17, s6
	s_wait_alu 0xf1ff
	v_add_co_ci_u32_e64 v14, s1, s7, v18, s1
	s_delay_alu instid0(VALU_DEP_3) | instskip(SKIP_2) | instid1(VALU_DEP_1)
	v_lshl_or_b32 v0, v4, 16, v0
	global_store_b32 v[17:18], v0, off
	v_cvt_f32_f16_e32 v0, v7
	v_cvt_f64_f32_e32 v[17:18], v0
	s_delay_alu instid0(VALU_DEP_1) | instskip(NEXT) | instid1(VALU_DEP_1)
	v_mul_f64_e32 v[17:18], s[10:11], v[17:18]
	v_and_or_b32 v0, 0x1ff, v18, v17
	v_lshrrev_b32_e32 v4, 8, v18
	s_delay_alu instid0(VALU_DEP_2) | instskip(SKIP_1) | instid1(VALU_DEP_1)
	v_cmp_ne_u32_e64 s1, 0, v0
	s_wait_alu 0xf1ff
	v_cndmask_b32_e64 v0, 0, 1, s1
	s_delay_alu instid0(VALU_DEP_1) | instskip(SKIP_1) | instid1(VALU_DEP_2)
	v_and_or_b32 v0, 0xffe, v4, v0
	v_bfe_u32 v4, v18, 20, 11
	v_or_b32_e32 v15, 0x1000, v0
	s_delay_alu instid0(VALU_DEP_2) | instskip(SKIP_2) | instid1(VALU_DEP_3)
	v_sub_nc_u32_e32 v7, 0x3f1, v4
	v_add_nc_u32_e32 v4, 0xfffffc10, v4
	v_cmp_ne_u32_e64 s2, 0, v0
	v_med3_i32 v7, v7, 0, 13
	s_delay_alu instid0(VALU_DEP_1) | instskip(NEXT) | instid1(VALU_DEP_1)
	v_lshrrev_b32_e32 v17, v7, v15
	v_lshlrev_b32_e32 v7, v7, v17
	s_delay_alu instid0(VALU_DEP_1) | instskip(SKIP_2) | instid1(VALU_DEP_2)
	v_cmp_ne_u32_e64 s1, v7, v15
	v_lshl_or_b32 v15, v4, 12, v0
	s_wait_alu 0xf1ff
	v_cndmask_b32_e64 v7, 0, 1, s1
	v_cmp_gt_i32_e64 s1, 1, v4
	s_delay_alu instid0(VALU_DEP_2) | instskip(SKIP_1) | instid1(VALU_DEP_1)
	v_or_b32_e32 v7, v17, v7
	s_wait_alu 0xf1ff
	v_cndmask_b32_e64 v7, v15, v7, s1
	v_cndmask_b32_e64 v15, 0, 1, s0
	v_cmp_gt_i32_e64 s0, 1, v9
	s_delay_alu instid0(VALU_DEP_2) | instskip(SKIP_3) | instid1(VALU_DEP_2)
	v_or_b32_e32 v10, v10, v15
	v_lshl_or_b32 v15, v9, 12, v6
	v_cndmask_b32_e64 v6, 0, 1, s2
	s_wait_alu 0xf1ff
	v_cndmask_b32_e64 v10, v15, v10, s0
	v_and_b32_e32 v15, 7, v7
	s_delay_alu instid0(VALU_DEP_3) | instskip(NEXT) | instid1(VALU_DEP_3)
	v_lshl_or_b32 v6, v6, 9, 0x7c00
	v_and_b32_e32 v0, 7, v10
	s_delay_alu instid0(VALU_DEP_3) | instskip(SKIP_1) | instid1(VALU_DEP_3)
	v_cmp_lt_i32_e64 s0, 5, v15
	v_cmp_eq_u32_e64 s1, 3, v15
	v_cmp_lt_i32_e64 s3, 5, v0
	v_cmp_eq_u32_e64 s4, 3, v0
	v_lshrrev_b32_e32 v0, 2, v7
	s_delay_alu instid0(VALU_DEP_4) | instskip(SKIP_2) | instid1(VALU_DEP_2)
	s_or_b32 s0, s1, s0
	v_cndmask_b32_e64 v7, 0, 1, s5
	s_wait_alu 0xfffe
	v_add_co_ci_u32_e64 v0, s0, 0, v0, s0
	v_cmp_gt_i32_e64 s0, 31, v4
	s_delay_alu instid0(VALU_DEP_3) | instskip(SKIP_1) | instid1(VALU_DEP_2)
	v_lshl_or_b32 v7, v7, 9, 0x7c00
	s_wait_alu 0xf1ff
	v_cndmask_b32_e64 v0, 0x7c00, v0, s0
	v_cmp_eq_u32_e64 s0, 0x40f, v4
	v_lshrrev_b32_e32 v4, 16, v18
	s_wait_alu 0xf1ff
	s_delay_alu instid0(VALU_DEP_2) | instskip(SKIP_2) | instid1(VALU_DEP_2)
	v_cndmask_b32_e64 v0, v0, v6, s0
	v_lshrrev_b32_e32 v6, 2, v10
	s_or_b32 s0, s4, s3
	v_and_or_b32 v0, 0x8000, v4, v0
	s_wait_alu 0xfffe
	s_delay_alu instid0(VALU_DEP_2) | instskip(SKIP_1) | instid1(VALU_DEP_3)
	v_add_co_ci_u32_e64 v6, s0, 0, v6, s0
	v_cmp_gt_i32_e64 s0, 31, v9
	v_and_b32_e32 v0, 0xffff, v0
	s_wait_alu 0xf1ff
	s_delay_alu instid0(VALU_DEP_2) | instskip(SKIP_2) | instid1(VALU_DEP_1)
	v_cndmask_b32_e64 v6, 0x7c00, v6, s0
	v_cmp_eq_u32_e64 s0, 0x40f, v9
	s_wait_alu 0xf1ff
	v_cndmask_b32_e64 v6, v6, v7, s0
	v_add_co_u32 v17, s0, v13, s8
	s_wait_alu 0xf1ff
	v_add_co_ci_u32_e64 v18, s0, s9, v14, s0
	s_delay_alu instid0(VALU_DEP_3)
	v_and_or_b32 v3, 0x8000, v3, v6
	ds_load_2addr_b32 v[6:7], v128 offset0:24 offset1:220
	v_lshl_or_b32 v0, v3, 16, v0
	global_store_b32 v[13:14], v0, off
	s_wait_dscnt 0x0
	v_lshrrev_b32_e32 v23, 16, v6
	v_mul_f16_e32 v0, v28, v6
	s_delay_alu instid0(VALU_DEP_1) | instskip(NEXT) | instid1(VALU_DEP_1)
	v_fma_f16 v0, v27, v23, -v0
	v_cvt_f32_f16_e32 v0, v0
	s_delay_alu instid0(VALU_DEP_1) | instskip(NEXT) | instid1(VALU_DEP_1)
	v_cvt_f64_f32_e32 v[3:4], v0
	v_mul_f64_e32 v[19:20], s[10:11], v[3:4]
	s_delay_alu instid0(VALU_DEP_1) | instskip(SKIP_2) | instid1(VALU_DEP_3)
	v_and_or_b32 v0, 0x1ff, v20, v19
	v_lshrrev_b32_e32 v3, 8, v20
	v_bfe_u32 v24, v20, 20, 11
	v_cmp_ne_u32_e64 s0, 0, v0
	s_wait_alu 0xf1ff
	s_delay_alu instid0(VALU_DEP_1) | instskip(NEXT) | instid1(VALU_DEP_1)
	v_cndmask_b32_e64 v0, 0, 1, s0
	v_and_or_b32 v19, 0xffe, v3, v0
	v_sub_nc_u32_e32 v0, 0x3f1, v24
	s_delay_alu instid0(VALU_DEP_2) | instskip(NEXT) | instid1(VALU_DEP_2)
	v_or_b32_e32 v3, 0x1000, v19
	v_med3_i32 v0, v0, 0, 13
	s_delay_alu instid0(VALU_DEP_1) | instskip(NEXT) | instid1(VALU_DEP_1)
	v_lshrrev_b32_e32 v25, v0, v3
	v_lshlrev_b32_e32 v0, v0, v25
	s_delay_alu instid0(VALU_DEP_1) | instskip(SKIP_4) | instid1(VALU_DEP_1)
	v_cmp_ne_u32_e64 s1, v0, v3
	ds_load_2addr_b32 v[3:4], v127 offset0:40 offset1:236
	s_wait_dscnt 0x0
	v_lshrrev_b32_e32 v0, 16, v3
	v_mul_f16_e32 v9, v30, v3
	v_fma_f16 v9, v29, v0, -v9
	v_mul_f16_e32 v0, v30, v0
	s_delay_alu instid0(VALU_DEP_2) | instskip(NEXT) | instid1(VALU_DEP_2)
	v_cvt_f32_f16_e32 v9, v9
	v_fmac_f16_e32 v0, v29, v3
	s_delay_alu instid0(VALU_DEP_2) | instskip(NEXT) | instid1(VALU_DEP_2)
	v_cvt_f64_f32_e32 v[9:10], v9
	v_cvt_f32_f16_e32 v0, v0
	s_delay_alu instid0(VALU_DEP_2) | instskip(NEXT) | instid1(VALU_DEP_1)
	v_mul_f64_e32 v[9:10], s[10:11], v[9:10]
	v_and_or_b32 v9, 0x1ff, v10, v9
	v_lshrrev_b32_e32 v13, 8, v10
	v_bfe_u32 v14, v10, 20, 11
	s_delay_alu instid0(VALU_DEP_3) | instskip(SKIP_1) | instid1(VALU_DEP_1)
	v_cmp_ne_u32_e64 s0, 0, v9
	s_wait_alu 0xf1ff
	v_cndmask_b32_e64 v9, 0, 1, s0
	s_delay_alu instid0(VALU_DEP_1) | instskip(SKIP_2) | instid1(VALU_DEP_3)
	v_and_or_b32 v13, 0xffe, v13, v9
	v_sub_nc_u32_e32 v9, 0x3f1, v14
	v_add_nc_u32_e32 v14, 0xfffffc10, v14
	v_or_b32_e32 v21, 0x1000, v13
	s_delay_alu instid0(VALU_DEP_3) | instskip(SKIP_1) | instid1(VALU_DEP_2)
	v_med3_i32 v9, v9, 0, 13
	v_cmp_ne_u32_e64 s5, 0, v13
	v_lshrrev_b32_e32 v15, v9, v21
	s_delay_alu instid0(VALU_DEP_1) | instskip(NEXT) | instid1(VALU_DEP_1)
	v_lshlrev_b32_e32 v9, v9, v15
	v_cmp_ne_u32_e64 s0, v9, v21
	v_mul_f16_e32 v9, v31, v16
	s_delay_alu instid0(VALU_DEP_1) | instskip(NEXT) | instid1(VALU_DEP_1)
	v_fmac_f16_e32 v9, v26, v1
	v_cvt_f32_f16_e32 v1, v9
	s_delay_alu instid0(VALU_DEP_1) | instskip(NEXT) | instid1(VALU_DEP_1)
	v_cvt_f64_f32_e32 v[21:22], v1
	v_mul_f64_e32 v[21:22], s[10:11], v[21:22]
	s_delay_alu instid0(VALU_DEP_1) | instskip(SKIP_1) | instid1(VALU_DEP_2)
	v_and_or_b32 v1, 0x1ff, v22, v21
	v_lshrrev_b32_e32 v9, 8, v22
	v_cmp_ne_u32_e64 s2, 0, v1
	s_wait_alu 0xf1ff
	s_delay_alu instid0(VALU_DEP_1) | instskip(NEXT) | instid1(VALU_DEP_1)
	v_cndmask_b32_e64 v1, 0, 1, s2
	v_and_or_b32 v1, 0xffe, v9, v1
	v_bfe_u32 v9, v22, 20, 11
	s_delay_alu instid0(VALU_DEP_2) | instskip(NEXT) | instid1(VALU_DEP_2)
	v_or_b32_e32 v21, 0x1000, v1
	v_sub_nc_u32_e32 v16, 0x3f1, v9
	v_add_nc_u32_e32 v9, 0xfffffc10, v9
	v_cmp_ne_u32_e64 s4, 0, v1
	s_delay_alu instid0(VALU_DEP_3) | instskip(NEXT) | instid1(VALU_DEP_1)
	v_med3_i32 v16, v16, 0, 13
	v_lshrrev_b32_e32 v26, v16, v21
	s_delay_alu instid0(VALU_DEP_1) | instskip(NEXT) | instid1(VALU_DEP_1)
	v_lshlrev_b32_e32 v16, v16, v26
	v_cmp_ne_u32_e64 s2, v16, v21
	v_lshl_or_b32 v21, v9, 12, v1
	s_wait_alu 0xfffd
	v_cndmask_b32_e64 v1, 0, 1, vcc_lo
	v_cmp_gt_i32_e32 vcc_lo, 1, v11
	s_wait_alu 0xf1ff
	v_cndmask_b32_e64 v16, 0, 1, s2
	v_cmp_gt_i32_e64 s2, 1, v9
	v_or_b32_e32 v1, v12, v1
	v_lshl_or_b32 v12, v11, 12, v8
	s_delay_alu instid0(VALU_DEP_4) | instskip(SKIP_1) | instid1(VALU_DEP_2)
	v_or_b32_e32 v16, v26, v16
	s_wait_alu 0xfffd
	v_cndmask_b32_e32 v1, v12, v1, vcc_lo
	s_wait_alu 0xf1ff
	s_delay_alu instid0(VALU_DEP_2) | instskip(NEXT) | instid1(VALU_DEP_1)
	v_cndmask_b32_e64 v16, v21, v16, s2
	v_and_b32_e32 v21, 7, v16
	v_lshrrev_b32_e32 v12, 2, v16
	v_cndmask_b32_e64 v16, 0, 1, s4
	s_delay_alu instid0(VALU_DEP_3) | instskip(SKIP_1) | instid1(VALU_DEP_3)
	v_cmp_lt_i32_e64 s2, 5, v21
	v_cmp_eq_u32_e64 s3, 3, v21
	v_lshl_or_b32 v16, v16, 9, 0x7c00
	s_delay_alu instid0(VALU_DEP_2)
	s_or_b32 vcc_lo, s3, s2
	v_cmp_ne_u32_e64 s3, 0, v8
	s_wait_alu 0xfffe
	v_add_co_ci_u32_e32 v12, vcc_lo, 0, v12, vcc_lo
	v_cmp_gt_i32_e32 vcc_lo, 31, v9
	s_wait_alu 0xf1ff
	v_cndmask_b32_e64 v8, 0, 1, s3
	s_wait_alu 0xfffd
	v_cndmask_b32_e32 v12, 0x7c00, v12, vcc_lo
	v_cmp_eq_u32_e32 vcc_lo, 0x40f, v9
	s_delay_alu instid0(VALU_DEP_3) | instskip(SKIP_1) | instid1(VALU_DEP_3)
	v_lshl_or_b32 v8, v8, 9, 0x7c00
	s_wait_alu 0xfffd
	v_dual_cndmask_b32 v9, v12, v16 :: v_dual_and_b32 v16, 7, v1
	v_lshrrev_b32_e32 v1, 2, v1
	v_lshrrev_b32_e32 v12, 16, v22
	s_delay_alu instid0(VALU_DEP_3) | instskip(SKIP_1) | instid1(VALU_DEP_1)
	v_cmp_lt_i32_e32 vcc_lo, 5, v16
	v_cmp_eq_u32_e64 s2, 3, v16
	s_or_b32 vcc_lo, s2, vcc_lo
	s_wait_alu 0xfffe
	v_add_co_ci_u32_e32 v1, vcc_lo, 0, v1, vcc_lo
	v_cmp_gt_i32_e32 vcc_lo, 31, v11
	s_wait_alu 0xfffd
	s_delay_alu instid0(VALU_DEP_2) | instskip(SKIP_2) | instid1(VALU_DEP_2)
	v_cndmask_b32_e32 v1, 0x7c00, v1, vcc_lo
	v_cmp_eq_u32_e32 vcc_lo, 0x40f, v11
	s_wait_alu 0xfffd
	v_cndmask_b32_e32 v1, v1, v8, vcc_lo
	v_and_or_b32 v8, 0x8000, v12, v9
	s_delay_alu instid0(VALU_DEP_2) | instskip(NEXT) | instid1(VALU_DEP_2)
	v_and_or_b32 v1, 0x8000, v5, v1
	v_and_b32_e32 v5, 0xffff, v8
	v_add_co_u32 v8, vcc_lo, v17, s6
	s_wait_alu 0xfffd
	v_add_co_ci_u32_e32 v9, vcc_lo, s7, v18, vcc_lo
	s_delay_alu instid0(VALU_DEP_3) | instskip(SKIP_2) | instid1(VALU_DEP_1)
	v_lshl_or_b32 v1, v1, 16, v5
	global_store_b32 v[17:18], v1, off
	v_mul_f16_e32 v1, v28, v23
	v_fmac_f16_e32 v1, v27, v6
	s_delay_alu instid0(VALU_DEP_1) | instskip(NEXT) | instid1(VALU_DEP_1)
	v_cvt_f32_f16_e32 v1, v1
	v_cvt_f64_f32_e32 v[5:6], v1
	s_delay_alu instid0(VALU_DEP_1) | instskip(NEXT) | instid1(VALU_DEP_1)
	v_mul_f64_e32 v[5:6], s[10:11], v[5:6]
	v_and_or_b32 v1, 0x1ff, v6, v5
	v_lshrrev_b32_e32 v5, 8, v6
	s_delay_alu instid0(VALU_DEP_2) | instskip(SKIP_2) | instid1(VALU_DEP_1)
	v_cmp_ne_u32_e32 vcc_lo, 0, v1
	s_wait_alu 0xfffd
	v_cndmask_b32_e64 v1, 0, 1, vcc_lo
	v_and_or_b32 v1, 0xffe, v5, v1
	v_bfe_u32 v5, v6, 20, 11
	v_lshrrev_b32_e32 v6, 16, v6
	s_delay_alu instid0(VALU_DEP_3) | instskip(NEXT) | instid1(VALU_DEP_3)
	v_or_b32_e32 v12, 0x1000, v1
	v_sub_nc_u32_e32 v11, 0x3f1, v5
	v_add_nc_u32_e32 v5, 0xfffffc10, v5
	s_delay_alu instid0(VALU_DEP_2) | instskip(NEXT) | instid1(VALU_DEP_1)
	v_med3_i32 v11, v11, 0, 13
	v_lshrrev_b32_e32 v16, v11, v12
	s_delay_alu instid0(VALU_DEP_1) | instskip(NEXT) | instid1(VALU_DEP_1)
	v_lshlrev_b32_e32 v11, v11, v16
	v_cmp_ne_u32_e32 vcc_lo, v11, v12
	v_lshl_or_b32 v12, v5, 12, v1
	s_wait_alu 0xfffd
	v_cndmask_b32_e64 v11, 0, 1, vcc_lo
	v_cmp_gt_i32_e32 vcc_lo, 1, v5
	s_delay_alu instid0(VALU_DEP_2) | instskip(SKIP_1) | instid1(VALU_DEP_1)
	v_or_b32_e32 v11, v16, v11
	s_wait_alu 0xfffd
	v_cndmask_b32_e32 v11, v12, v11, vcc_lo
	s_delay_alu instid0(VALU_DEP_1) | instskip(SKIP_1) | instid1(VALU_DEP_2)
	v_and_b32_e32 v12, 7, v11
	v_lshrrev_b32_e32 v11, 2, v11
	v_cmp_lt_i32_e32 vcc_lo, 5, v12
	v_cmp_eq_u32_e64 s2, 3, v12
	v_cndmask_b32_e64 v12, 0, 1, s1
	v_cmp_ne_u32_e64 s1, 0, v1
	v_add_nc_u32_e32 v1, 0xfffffc10, v24
	s_delay_alu instid0(VALU_DEP_4) | instskip(NEXT) | instid1(VALU_DEP_3)
	s_or_b32 vcc_lo, s2, vcc_lo
	v_or_b32_e32 v12, v25, v12
	s_wait_alu 0xfffe
	v_add_co_ci_u32_e32 v11, vcc_lo, 0, v11, vcc_lo
	v_lshl_or_b32 v16, v1, 12, v19
	v_cmp_gt_i32_e64 s3, 1, v1
	v_cmp_gt_i32_e32 vcc_lo, 31, v5
	v_cmp_ne_u32_e64 s2, 0, v19
	s_wait_alu 0xf1ff
	s_delay_alu instid0(VALU_DEP_3) | instskip(SKIP_4) | instid1(VALU_DEP_3)
	v_cndmask_b32_e64 v12, v16, v12, s3
	v_cndmask_b32_e64 v16, 0, 1, s1
	s_wait_alu 0xfffd
	v_cndmask_b32_e32 v11, 0x7c00, v11, vcc_lo
	v_cmp_eq_u32_e32 vcc_lo, 0x40f, v5
	v_lshl_or_b32 v16, v16, 9, 0x7c00
	s_wait_alu 0xfffd
	s_delay_alu instid0(VALU_DEP_1) | instskip(SKIP_1) | instid1(VALU_DEP_2)
	v_cndmask_b32_e32 v5, v11, v16, vcc_lo
	v_and_b32_e32 v11, 7, v12
	v_and_or_b32 v5, 0x8000, v6, v5
	s_delay_alu instid0(VALU_DEP_2) | instskip(SKIP_4) | instid1(VALU_DEP_4)
	v_cmp_lt_i32_e32 vcc_lo, 5, v11
	v_cmp_eq_u32_e64 s1, 3, v11
	v_lshrrev_b32_e32 v11, 2, v12
	v_cndmask_b32_e64 v12, 0, 1, s2
	v_and_b32_e32 v5, 0xffff, v5
	s_or_b32 vcc_lo, s1, vcc_lo
	s_wait_alu 0xfffe
	v_add_co_ci_u32_e32 v11, vcc_lo, 0, v11, vcc_lo
	v_cmp_gt_i32_e32 vcc_lo, 31, v1
	v_lshl_or_b32 v12, v12, 9, 0x7c00
	s_wait_alu 0xfffd
	s_delay_alu instid0(VALU_DEP_3) | instskip(SKIP_2) | instid1(VALU_DEP_2)
	v_cndmask_b32_e32 v11, 0x7c00, v11, vcc_lo
	v_cmp_eq_u32_e32 vcc_lo, 0x40f, v1
	s_wait_alu 0xfffd
	v_cndmask_b32_e32 v1, v11, v12, vcc_lo
	v_lshrrev_b32_e32 v11, 16, v20
	s_delay_alu instid0(VALU_DEP_1) | instskip(SKIP_3) | instid1(VALU_DEP_3)
	v_and_or_b32 v1, 0x8000, v11, v1
	v_add_co_u32 v11, vcc_lo, v8, s6
	s_wait_alu 0xfffd
	v_add_co_ci_u32_e32 v12, vcc_lo, s7, v9, vcc_lo
	v_lshl_or_b32 v1, v1, 16, v5
	global_store_b32 v[8:9], v1, off
	ds_load_2addr_b32 v[8:9], v138 offset0:56 offset1:252
	s_wait_dscnt 0x0
	v_lshrrev_b32_e32 v24, 16, v8
	v_mul_f16_e32 v1, v36, v8
	s_delay_alu instid0(VALU_DEP_1) | instskip(NEXT) | instid1(VALU_DEP_1)
	v_fma_f16 v1, v35, v24, -v1
	v_cvt_f32_f16_e32 v1, v1
	s_delay_alu instid0(VALU_DEP_1) | instskip(NEXT) | instid1(VALU_DEP_1)
	v_cvt_f64_f32_e32 v[5:6], v1
	v_mul_f64_e32 v[18:19], s[10:11], v[5:6]
	s_delay_alu instid0(VALU_DEP_1) | instskip(SKIP_3) | instid1(VALU_DEP_4)
	v_and_or_b32 v1, 0x1ff, v19, v18
	v_lshrrev_b32_e32 v5, 8, v19
	v_bfe_u32 v27, v19, 20, 11
	v_lshrrev_b32_e32 v19, 16, v19
	v_cmp_ne_u32_e32 vcc_lo, 0, v1
	s_wait_alu 0xfffd
	v_cndmask_b32_e64 v1, 0, 1, vcc_lo
	s_delay_alu instid0(VALU_DEP_1) | instskip(SKIP_1) | instid1(VALU_DEP_2)
	v_and_or_b32 v26, 0xffe, v5, v1
	v_sub_nc_u32_e32 v1, 0x3f1, v27
	v_or_b32_e32 v5, 0x1000, v26
	s_delay_alu instid0(VALU_DEP_2) | instskip(NEXT) | instid1(VALU_DEP_1)
	v_med3_i32 v1, v1, 0, 13
	v_lshrrev_b32_e32 v28, v1, v5
	s_delay_alu instid0(VALU_DEP_1) | instskip(NEXT) | instid1(VALU_DEP_1)
	v_lshlrev_b32_e32 v1, v1, v28
	v_cmp_ne_u32_e64 s1, v1, v5
	v_cvt_f64_f32_e32 v[0:1], v0
	s_delay_alu instid0(VALU_DEP_1) | instskip(NEXT) | instid1(VALU_DEP_1)
	v_mul_f64_e32 v[0:1], s[10:11], v[0:1]
	v_and_or_b32 v0, 0x1ff, v1, v0
	v_lshrrev_b32_e32 v3, 8, v1
	s_delay_alu instid0(VALU_DEP_2) | instskip(SKIP_2) | instid1(VALU_DEP_1)
	v_cmp_ne_u32_e32 vcc_lo, 0, v0
	s_wait_alu 0xfffd
	v_cndmask_b32_e64 v0, 0, 1, vcc_lo
	v_and_or_b32 v0, 0xffe, v3, v0
	v_bfe_u32 v3, v1, 20, 11
	v_lshrrev_b32_e32 v1, 16, v1
	s_delay_alu instid0(VALU_DEP_3) | instskip(NEXT) | instid1(VALU_DEP_3)
	v_or_b32_e32 v6, 0x1000, v0
	v_sub_nc_u32_e32 v5, 0x3f1, v3
	v_add_nc_u32_e32 v3, 0xfffffc10, v3
	v_cmp_ne_u32_e64 s2, 0, v0
	s_delay_alu instid0(VALU_DEP_3) | instskip(NEXT) | instid1(VALU_DEP_1)
	v_med3_i32 v5, v5, 0, 13
	v_lshrrev_b32_e32 v16, v5, v6
	s_delay_alu instid0(VALU_DEP_1) | instskip(NEXT) | instid1(VALU_DEP_1)
	v_lshlrev_b32_e32 v5, v5, v16
	v_cmp_ne_u32_e32 vcc_lo, v5, v6
	v_lshl_or_b32 v6, v3, 12, v0
	s_wait_alu 0xfffd
	v_cndmask_b32_e64 v5, 0, 1, vcc_lo
	v_cmp_gt_i32_e32 vcc_lo, 1, v3
	s_delay_alu instid0(VALU_DEP_2) | instskip(SKIP_1) | instid1(VALU_DEP_1)
	v_or_b32_e32 v5, v16, v5
	s_wait_alu 0xfffd
	v_cndmask_b32_e32 v5, v6, v5, vcc_lo
	v_cndmask_b32_e64 v6, 0, 1, s0
	v_cmp_gt_i32_e32 vcc_lo, 1, v14
	s_delay_alu instid0(VALU_DEP_2) | instskip(SKIP_4) | instid1(VALU_DEP_1)
	v_or_b32_e32 v6, v15, v6
	v_lshl_or_b32 v15, v14, 12, v13
	scratch_load_b32 v13, off, off offset:52 th:TH_LOAD_LU ; 4-byte Folded Reload
	s_wait_alu 0xfffd
	v_dual_cndmask_b32 v6, v15, v6 :: v_dual_and_b32 v15, 7, v5
	v_and_b32_e32 v0, 7, v6
	s_delay_alu instid0(VALU_DEP_2) | instskip(SKIP_1) | instid1(VALU_DEP_3)
	v_cmp_lt_i32_e32 vcc_lo, 5, v15
	v_cmp_eq_u32_e64 s0, 3, v15
	v_cmp_lt_i32_e64 s3, 5, v0
	v_cmp_eq_u32_e64 s4, 3, v0
	v_lshrrev_b32_e32 v0, 2, v5
	s_delay_alu instid0(VALU_DEP_4) | instskip(SKIP_2) | instid1(VALU_DEP_2)
	s_or_b32 vcc_lo, s0, vcc_lo
	v_cndmask_b32_e64 v5, 0, 1, s2
	s_wait_alu 0xfffe
	v_add_co_ci_u32_e32 v0, vcc_lo, 0, v0, vcc_lo
	v_cmp_gt_i32_e32 vcc_lo, 31, v3
	s_delay_alu instid0(VALU_DEP_3) | instskip(SKIP_1) | instid1(VALU_DEP_3)
	v_lshl_or_b32 v5, v5, 9, 0x7c00
	s_wait_alu 0xfffd
	v_cndmask_b32_e32 v0, 0x7c00, v0, vcc_lo
	v_cmp_eq_u32_e32 vcc_lo, 0x40f, v3
	v_lshrrev_b32_e32 v3, 2, v6
	s_wait_alu 0xfffd
	s_delay_alu instid0(VALU_DEP_3)
	v_cndmask_b32_e32 v0, v0, v5, vcc_lo
	s_or_b32 vcc_lo, s4, s3
	v_cndmask_b32_e64 v5, 0, 1, s5
	s_wait_alu 0xfffe
	v_add_co_ci_u32_e32 v3, vcc_lo, 0, v3, vcc_lo
	v_cmp_gt_i32_e32 vcc_lo, 31, v14
	v_and_or_b32 v0, 0x8000, v1, v0
	v_lshl_or_b32 v5, v5, 9, 0x7c00
	s_wait_alu 0xfffd
	v_cndmask_b32_e32 v3, 0x7c00, v3, vcc_lo
	v_cmp_eq_u32_e32 vcc_lo, 0x40f, v14
	s_wait_alu 0xfffd
	s_delay_alu instid0(VALU_DEP_2) | instskip(SKIP_4) | instid1(VALU_DEP_3)
	v_dual_cndmask_b32 v3, v3, v5 :: v_dual_and_b32 v0, 0xffff, v0
	v_lshrrev_b32_e32 v5, 16, v10
	v_add_co_u32 v20, vcc_lo, v11, s6
	s_wait_alu 0xfffd
	v_add_co_ci_u32_e32 v21, vcc_lo, s7, v12, vcc_lo
	v_and_or_b32 v1, 0x8000, v5, v3
	ds_load_2addr_b32 v[5:6], v197 offset0:8 offset1:204
	v_lshl_or_b32 v0, v1, 16, v0
	global_store_b32 v[11:12], v0, off
	scratch_load_b32 v12, off, off offset:56 th:TH_LOAD_LU ; 4-byte Folded Reload
	s_wait_dscnt 0x0
	v_lshrrev_b32_e32 v29, 16, v5
	v_mul_f16_e32 v0, v40, v5
	s_delay_alu instid0(VALU_DEP_1) | instskip(NEXT) | instid1(VALU_DEP_1)
	v_fma_f16 v0, v39, v29, -v0
	v_cvt_f32_f16_e32 v0, v0
	s_delay_alu instid0(VALU_DEP_1) | instskip(NEXT) | instid1(VALU_DEP_1)
	v_cvt_f64_f32_e32 v[0:1], v0
	v_mul_f64_e32 v[22:23], s[10:11], v[0:1]
	s_delay_alu instid0(VALU_DEP_1)
	v_and_or_b32 v0, 0x1ff, v23, v22
	v_lshrrev_b32_e32 v1, 8, v23
	v_bfe_u32 v31, v23, 20, 11
	scratch_load_b32 v22, off, off offset:48 th:TH_LOAD_LU ; 4-byte Folded Reload
	v_cmp_ne_u32_e32 vcc_lo, 0, v0
	s_wait_alu 0xfffd
	v_cndmask_b32_e64 v0, 0, 1, vcc_lo
	s_delay_alu instid0(VALU_DEP_1) | instskip(SKIP_1) | instid1(VALU_DEP_2)
	v_and_or_b32 v30, 0xffe, v1, v0
	v_sub_nc_u32_e32 v0, 0x3f1, v31
	v_or_b32_e32 v1, 0x1000, v30
	s_delay_alu instid0(VALU_DEP_2) | instskip(NEXT) | instid1(VALU_DEP_1)
	v_med3_i32 v0, v0, 0, 13
	v_lshrrev_b32_e32 v32, v0, v1
	s_delay_alu instid0(VALU_DEP_1) | instskip(NEXT) | instid1(VALU_DEP_1)
	v_lshlrev_b32_e32 v0, v0, v32
	v_cmp_ne_u32_e64 s2, v0, v1
	ds_load_2addr_b32 v[0:1], v194 offset0:24 offset1:220
	s_wait_dscnt 0x0
	v_lshrrev_b32_e32 v15, 16, v0
	v_mul_f16_e32 v3, v38, v0
	s_delay_alu instid0(VALU_DEP_1) | instskip(NEXT) | instid1(VALU_DEP_1)
	v_fma_f16 v3, v37, v15, -v3
	v_cvt_f32_f16_e32 v3, v3
	s_delay_alu instid0(VALU_DEP_1) | instskip(NEXT) | instid1(VALU_DEP_1)
	v_cvt_f64_f32_e32 v[10:11], v3
	v_mul_f64_e32 v[10:11], s[10:11], v[10:11]
	s_delay_alu instid0(VALU_DEP_1) | instskip(SKIP_2) | instid1(VALU_DEP_3)
	v_and_or_b32 v3, 0x1ff, v11, v10
	v_lshrrev_b32_e32 v10, 8, v11
	v_bfe_u32 v17, v11, 20, 11
	v_cmp_ne_u32_e32 vcc_lo, 0, v3
	s_wait_alu 0xfffd
	v_cndmask_b32_e64 v3, 0, 1, vcc_lo
	s_delay_alu instid0(VALU_DEP_1) | instskip(SKIP_1) | instid1(VALU_DEP_2)
	v_and_or_b32 v16, 0xffe, v10, v3
	v_sub_nc_u32_e32 v3, 0x3f1, v17
	v_or_b32_e32 v10, 0x1000, v16
	s_delay_alu instid0(VALU_DEP_2) | instskip(NEXT) | instid1(VALU_DEP_1)
	v_med3_i32 v3, v3, 0, 13
	v_lshrrev_b32_e32 v18, v3, v10
	s_delay_alu instid0(VALU_DEP_1) | instskip(NEXT) | instid1(VALU_DEP_1)
	v_lshlrev_b32_e32 v3, v3, v18
	v_cmp_ne_u32_e64 s0, v3, v10
	scratch_load_b32 v10, off, off offset:60 th:TH_LOAD_LU ; 4-byte Folded Reload
	v_lshrrev_b32_e32 v3, 16, v2
	s_wait_loadcnt 0x0
	s_delay_alu instid0(VALU_DEP_1) | instskip(SKIP_1) | instid1(VALU_DEP_2)
	v_mul_f16_e32 v33, v10, v3
	v_mul_f16_e32 v10, v10, v2
	v_fmac_f16_e32 v33, v12, v2
	s_delay_alu instid0(VALU_DEP_2) | instskip(SKIP_4) | instid1(VALU_DEP_2)
	v_fma_f16 v14, v12, v3, -v10
	ds_load_2addr_b32 v[2:3], v116 offset0:40 offset1:236
	s_wait_dscnt 0x0
	v_lshrrev_b32_e32 v10, 16, v2
	v_mul_f16_e32 v12, v13, v2
	v_mul_f16_e32 v13, v13, v10
	s_delay_alu instid0(VALU_DEP_2) | instskip(NEXT) | instid1(VALU_DEP_2)
	v_fma_f16 v34, v22, v10, -v12
	v_fmac_f16_e32 v13, v22, v2
	s_delay_alu instid0(VALU_DEP_1) | instskip(NEXT) | instid1(VALU_DEP_1)
	v_cvt_f32_f16_e32 v2, v13
	v_cvt_f64_f32_e32 v[12:13], v2
	s_delay_alu instid0(VALU_DEP_1) | instskip(NEXT) | instid1(VALU_DEP_1)
	v_mul_f64_e32 v[12:13], s[10:11], v[12:13]
	v_and_or_b32 v2, 0x1ff, v13, v12
	v_lshrrev_b32_e32 v10, 8, v13
	s_delay_alu instid0(VALU_DEP_2) | instskip(SKIP_2) | instid1(VALU_DEP_1)
	v_cmp_ne_u32_e32 vcc_lo, 0, v2
	s_wait_alu 0xfffd
	v_cndmask_b32_e64 v2, 0, 1, vcc_lo
	v_and_or_b32 v2, 0xffe, v10, v2
	v_bfe_u32 v10, v13, 20, 11
	v_lshrrev_b32_e32 v13, 16, v13
	s_delay_alu instid0(VALU_DEP_3) | instskip(NEXT) | instid1(VALU_DEP_3)
	v_or_b32_e32 v25, 0x1000, v2
	v_sub_nc_u32_e32 v12, 0x3f1, v10
	s_delay_alu instid0(VALU_DEP_1) | instskip(NEXT) | instid1(VALU_DEP_1)
	v_med3_i32 v22, v12, 0, 13
	v_lshrrev_b32_e32 v12, v22, v25
	s_delay_alu instid0(VALU_DEP_1) | instskip(NEXT) | instid1(VALU_DEP_1)
	v_lshlrev_b32_e32 v22, v22, v12
	v_cmp_ne_u32_e32 vcc_lo, v22, v25
	v_mul_f16_e32 v22, v36, v24
	s_delay_alu instid0(VALU_DEP_1) | instskip(NEXT) | instid1(VALU_DEP_1)
	v_fmac_f16_e32 v22, v35, v8
	v_cvt_f32_f16_e32 v8, v22
	s_delay_alu instid0(VALU_DEP_1) | instskip(NEXT) | instid1(VALU_DEP_1)
	v_cvt_f64_f32_e32 v[24:25], v8
	v_mul_f64_e32 v[24:25], s[10:11], v[24:25]
	s_delay_alu instid0(VALU_DEP_1) | instskip(SKIP_1) | instid1(VALU_DEP_2)
	v_and_or_b32 v8, 0x1ff, v25, v24
	v_lshrrev_b32_e32 v22, 8, v25
	v_cmp_ne_u32_e64 s3, 0, v8
	s_wait_alu 0xf1ff
	s_delay_alu instid0(VALU_DEP_1) | instskip(NEXT) | instid1(VALU_DEP_1)
	v_cndmask_b32_e64 v8, 0, 1, s3
	v_and_or_b32 v8, 0xffe, v22, v8
	v_bfe_u32 v22, v25, 20, 11
	s_delay_alu instid0(VALU_DEP_2) | instskip(NEXT) | instid1(VALU_DEP_2)
	v_or_b32_e32 v35, 0x1000, v8
	v_sub_nc_u32_e32 v24, 0x3f1, v22
	v_add_nc_u32_e32 v22, 0xfffffc10, v22
	s_delay_alu instid0(VALU_DEP_2) | instskip(NEXT) | instid1(VALU_DEP_1)
	v_med3_i32 v24, v24, 0, 13
	v_lshrrev_b32_e32 v36, v24, v35
	s_delay_alu instid0(VALU_DEP_1) | instskip(NEXT) | instid1(VALU_DEP_1)
	v_lshlrev_b32_e32 v24, v24, v36
	v_cmp_ne_u32_e64 s3, v24, v35
	v_lshl_or_b32 v35, v22, 12, v8
	s_wait_alu 0xf1ff
	s_delay_alu instid0(VALU_DEP_2) | instskip(SKIP_1) | instid1(VALU_DEP_2)
	v_cndmask_b32_e64 v24, 0, 1, s3
	v_cmp_gt_i32_e64 s3, 1, v22
	v_or_b32_e32 v24, v36, v24
	s_wait_alu 0xf1ff
	s_delay_alu instid0(VALU_DEP_1) | instskip(NEXT) | instid1(VALU_DEP_1)
	v_cndmask_b32_e64 v24, v35, v24, s3
	v_and_b32_e32 v35, 7, v24
	v_lshrrev_b32_e32 v24, 2, v24
	s_delay_alu instid0(VALU_DEP_2) | instskip(SKIP_4) | instid1(VALU_DEP_4)
	v_cmp_lt_i32_e64 s3, 5, v35
	v_cmp_eq_u32_e64 s4, 3, v35
	v_cndmask_b32_e64 v35, 0, 1, s1
	v_cmp_ne_u32_e64 s1, 0, v8
	v_add_nc_u32_e32 v8, 0xfffffc10, v27
	s_or_b32 s3, s4, s3
	s_delay_alu instid0(VALU_DEP_3)
	v_or_b32_e32 v28, v28, v35
	s_wait_alu 0xfffe
	v_add_co_ci_u32_e64 v24, s3, 0, v24, s3
	v_lshl_or_b32 v27, v8, 12, v26
	v_cmp_gt_i32_e64 s5, 1, v8
	v_cmp_gt_i32_e64 s3, 31, v22
	v_cmp_ne_u32_e64 s4, 0, v26
	s_wait_alu 0xf1ff
	s_delay_alu instid0(VALU_DEP_3) | instskip(SKIP_4) | instid1(VALU_DEP_4)
	v_cndmask_b32_e64 v27, v27, v28, s5
	v_cndmask_b32_e64 v28, 0, 1, s1
	v_cndmask_b32_e64 v24, 0x7c00, v24, s3
	v_cmp_eq_u32_e64 s1, 0x40f, v22
	v_cndmask_b32_e64 v26, 0, 1, s4
	v_lshl_or_b32 v28, v28, 9, 0x7c00
	s_delay_alu instid0(VALU_DEP_2) | instskip(SKIP_1) | instid1(VALU_DEP_2)
	v_lshl_or_b32 v26, v26, 9, 0x7c00
	s_wait_alu 0xf1ff
	v_cndmask_b32_e64 v22, v24, v28, s1
	v_lshrrev_b32_e32 v24, 16, v25
	v_and_b32_e32 v25, 7, v27
	s_delay_alu instid0(VALU_DEP_2) | instskip(NEXT) | instid1(VALU_DEP_2)
	v_and_or_b32 v22, 0x8000, v24, v22
	v_cmp_lt_i32_e64 s1, 5, v25
	v_cmp_eq_u32_e64 s3, 3, v25
	v_lshrrev_b32_e32 v25, 2, v27
	s_delay_alu instid0(VALU_DEP_2) | instskip(SKIP_1) | instid1(VALU_DEP_1)
	s_or_b32 s1, s3, s1
	s_wait_alu 0xfffe
	v_add_co_ci_u32_e64 v25, s1, 0, v25, s1
	v_cmp_gt_i32_e64 s1, 31, v8
	s_wait_alu 0xf1ff
	s_delay_alu instid0(VALU_DEP_1) | instskip(SKIP_2) | instid1(VALU_DEP_1)
	v_cndmask_b32_e64 v25, 0x7c00, v25, s1
	v_cmp_eq_u32_e64 s1, 0x40f, v8
	s_wait_alu 0xf1ff
	v_cndmask_b32_e64 v8, v25, v26, s1
	s_delay_alu instid0(VALU_DEP_1) | instskip(SKIP_1) | instid1(VALU_DEP_1)
	v_and_or_b32 v8, 0x8000, v19, v8
	v_and_b32_e32 v19, 0xffff, v22
	v_lshl_or_b32 v8, v8, 16, v19
	v_add_co_u32 v19, s1, v20, s6
	global_store_b32 v[20:21], v8, off
	v_mul_f16_e32 v8, v40, v29
	s_wait_alu 0xf1ff
	v_add_co_ci_u32_e64 v20, s1, s7, v21, s1
	s_delay_alu instid0(VALU_DEP_2) | instskip(NEXT) | instid1(VALU_DEP_1)
	v_fmac_f16_e32 v8, v39, v5
	v_cvt_f32_f16_e32 v5, v8
	s_delay_alu instid0(VALU_DEP_1) | instskip(NEXT) | instid1(VALU_DEP_1)
	v_cvt_f64_f32_e32 v[21:22], v5
	v_mul_f64_e32 v[21:22], s[10:11], v[21:22]
	s_delay_alu instid0(VALU_DEP_1) | instskip(SKIP_1) | instid1(VALU_DEP_2)
	v_and_or_b32 v5, 0x1ff, v22, v21
	v_lshrrev_b32_e32 v8, 8, v22
	v_cmp_ne_u32_e64 s1, 0, v5
	s_wait_alu 0xf1ff
	s_delay_alu instid0(VALU_DEP_1) | instskip(NEXT) | instid1(VALU_DEP_1)
	v_cndmask_b32_e64 v5, 0, 1, s1
	v_and_or_b32 v5, 0xffe, v8, v5
	v_bfe_u32 v8, v22, 20, 11
	s_delay_alu instid0(VALU_DEP_2) | instskip(NEXT) | instid1(VALU_DEP_2)
	v_or_b32_e32 v24, 0x1000, v5
	v_sub_nc_u32_e32 v21, 0x3f1, v8
	v_add_nc_u32_e32 v8, 0xfffffc10, v8
	s_delay_alu instid0(VALU_DEP_2) | instskip(NEXT) | instid1(VALU_DEP_1)
	v_med3_i32 v21, v21, 0, 13
	v_lshrrev_b32_e32 v25, v21, v24
	s_delay_alu instid0(VALU_DEP_1) | instskip(NEXT) | instid1(VALU_DEP_1)
	v_lshlrev_b32_e32 v21, v21, v25
	v_cmp_ne_u32_e64 s1, v21, v24
	v_lshl_or_b32 v24, v8, 12, v5
	s_wait_alu 0xf1ff
	s_delay_alu instid0(VALU_DEP_2) | instskip(SKIP_1) | instid1(VALU_DEP_2)
	v_cndmask_b32_e64 v21, 0, 1, s1
	v_cmp_gt_i32_e64 s1, 1, v8
	v_or_b32_e32 v21, v25, v21
	s_wait_alu 0xf1ff
	s_delay_alu instid0(VALU_DEP_1) | instskip(NEXT) | instid1(VALU_DEP_1)
	v_cndmask_b32_e64 v21, v24, v21, s1
	v_and_b32_e32 v24, 7, v21
	v_lshrrev_b32_e32 v21, 2, v21
	s_delay_alu instid0(VALU_DEP_2) | instskip(SKIP_4) | instid1(VALU_DEP_4)
	v_cmp_lt_i32_e64 s1, 5, v24
	v_cmp_eq_u32_e64 s3, 3, v24
	v_cndmask_b32_e64 v24, 0, 1, s2
	v_cmp_ne_u32_e64 s2, 0, v5
	v_add_nc_u32_e32 v5, 0xfffffc10, v31
	s_or_b32 s1, s3, s1
	s_delay_alu instid0(VALU_DEP_3)
	v_or_b32_e32 v24, v32, v24
	s_wait_alu 0xfffe
	v_add_co_ci_u32_e64 v21, s1, 0, v21, s1
	v_lshl_or_b32 v25, v5, 12, v30
	v_cmp_gt_i32_e64 s4, 1, v5
	v_cmp_gt_i32_e64 s1, 31, v8
	v_cmp_ne_u32_e64 s3, 0, v30
	s_wait_alu 0xf1ff
	s_delay_alu instid0(VALU_DEP_3) | instskip(SKIP_3) | instid1(VALU_DEP_3)
	v_cndmask_b32_e64 v24, v25, v24, s4
	v_cndmask_b32_e64 v25, 0, 1, s2
	;; [unrolled: 1-line block ×3, first 2 shown]
	v_cmp_eq_u32_e64 s1, 0x40f, v8
	v_lshl_or_b32 v25, v25, 9, 0x7c00
	s_wait_alu 0xf1ff
	s_delay_alu instid0(VALU_DEP_1) | instskip(SKIP_2) | instid1(VALU_DEP_2)
	v_cndmask_b32_e64 v8, v21, v25, s1
	v_lshrrev_b32_e32 v21, 16, v22
	v_and_b32_e32 v22, 7, v24
	v_and_or_b32 v8, 0x8000, v21, v8
	s_delay_alu instid0(VALU_DEP_2) | instskip(SKIP_4) | instid1(VALU_DEP_4)
	v_cmp_lt_i32_e64 s1, 5, v22
	v_cmp_eq_u32_e64 s2, 3, v22
	v_lshrrev_b32_e32 v22, 2, v24
	v_cndmask_b32_e64 v24, 0, 1, s3
	v_and_b32_e32 v8, 0xffff, v8
	s_or_b32 s1, s2, s1
	s_wait_alu 0xfffe
	v_add_co_ci_u32_e64 v22, s1, 0, v22, s1
	v_cmp_gt_i32_e64 s1, 31, v5
	v_lshl_or_b32 v24, v24, 9, 0x7c00
	s_wait_alu 0xf1ff
	s_delay_alu instid0(VALU_DEP_2) | instskip(SKIP_2) | instid1(VALU_DEP_1)
	v_cndmask_b32_e64 v22, 0x7c00, v22, s1
	v_cmp_eq_u32_e64 s1, 0x40f, v5
	s_wait_alu 0xf1ff
	v_cndmask_b32_e64 v5, v22, v24, s1
	v_lshrrev_b32_e32 v22, 16, v23
	scratch_load_b32 v23, off, off offset:40 th:TH_LOAD_LU ; 4-byte Folded Reload
	v_and_or_b32 v5, 0x8000, v22, v5
	s_delay_alu instid0(VALU_DEP_1)
	v_lshl_or_b32 v5, v5, 16, v8
	global_store_b32 v[19:20], v5, off
	v_cvt_f32_f16_e32 v5, v34
	v_add_co_u32 v19, s1, v19, s6
	s_wait_alu 0xf1ff
	v_add_co_ci_u32_e64 v20, s1, s7, v20, s1
	s_delay_alu instid0(VALU_DEP_3) | instskip(NEXT) | instid1(VALU_DEP_1)
	v_cvt_f64_f32_e32 v[21:22], v5
	v_mul_f64_e32 v[21:22], s[10:11], v[21:22]
	s_delay_alu instid0(VALU_DEP_1) | instskip(SKIP_3) | instid1(VALU_DEP_4)
	v_and_or_b32 v5, 0x1ff, v22, v21
	v_lshrrev_b32_e32 v8, 8, v22
	v_bfe_u32 v25, v22, 20, 11
	v_lshrrev_b32_e32 v22, 16, v22
	v_cmp_ne_u32_e64 s1, 0, v5
	s_wait_alu 0xf1ff
	s_delay_alu instid0(VALU_DEP_1) | instskip(NEXT) | instid1(VALU_DEP_1)
	v_cndmask_b32_e64 v5, 0, 1, s1
	v_and_or_b32 v21, 0xffe, v8, v5
	v_sub_nc_u32_e32 v5, 0x3f1, v25
	s_delay_alu instid0(VALU_DEP_2) | instskip(NEXT) | instid1(VALU_DEP_2)
	v_or_b32_e32 v8, 0x1000, v21
	v_med3_i32 v5, v5, 0, 13
	s_delay_alu instid0(VALU_DEP_1) | instskip(NEXT) | instid1(VALU_DEP_1)
	v_lshrrev_b32_e32 v26, v5, v8
	v_lshlrev_b32_e32 v5, v5, v26
	s_delay_alu instid0(VALU_DEP_1) | instskip(SKIP_3) | instid1(VALU_DEP_1)
	v_cmp_ne_u32_e64 s1, v5, v8
	scratch_load_b32 v8, off, off offset:44 th:TH_LOAD_LU ; 4-byte Folded Reload
	v_lshrrev_b32_e32 v5, 16, v7
	s_wait_loadcnt 0x0
	v_mul_f16_e32 v27, v8, v5
	v_mul_f16_e32 v8, v8, v7
	s_delay_alu instid0(VALU_DEP_2) | instskip(SKIP_1) | instid1(VALU_DEP_3)
	v_fmac_f16_e32 v27, v23, v7
	v_mul_f16_e32 v7, v38, v15
	v_fma_f16 v28, v23, v5, -v8
	s_delay_alu instid0(VALU_DEP_2) | instskip(NEXT) | instid1(VALU_DEP_1)
	v_fmac_f16_e32 v7, v37, v0
	v_cvt_f32_f16_e32 v0, v7
	s_delay_alu instid0(VALU_DEP_1) | instskip(NEXT) | instid1(VALU_DEP_1)
	v_cvt_f64_f32_e32 v[7:8], v0
	v_mul_f64_e32 v[7:8], s[10:11], v[7:8]
	s_delay_alu instid0(VALU_DEP_1) | instskip(SKIP_1) | instid1(VALU_DEP_2)
	v_and_or_b32 v0, 0x1ff, v8, v7
	v_lshrrev_b32_e32 v5, 8, v8
	v_cmp_ne_u32_e64 s2, 0, v0
	s_wait_alu 0xf1ff
	s_delay_alu instid0(VALU_DEP_1) | instskip(NEXT) | instid1(VALU_DEP_1)
	v_cndmask_b32_e64 v0, 0, 1, s2
	v_and_or_b32 v0, 0xffe, v5, v0
	v_bfe_u32 v5, v8, 20, 11
	s_delay_alu instid0(VALU_DEP_2) | instskip(NEXT) | instid1(VALU_DEP_2)
	v_or_b32_e32 v15, 0x1000, v0
	v_sub_nc_u32_e32 v7, 0x3f1, v5
	v_add_nc_u32_e32 v5, 0xfffffc10, v5
	s_delay_alu instid0(VALU_DEP_2) | instskip(NEXT) | instid1(VALU_DEP_1)
	v_med3_i32 v7, v7, 0, 13
	v_lshrrev_b32_e32 v23, v7, v15
	s_delay_alu instid0(VALU_DEP_1) | instskip(NEXT) | instid1(VALU_DEP_1)
	v_lshlrev_b32_e32 v7, v7, v23
	v_cmp_ne_u32_e64 s2, v7, v15
	v_lshl_or_b32 v15, v5, 12, v0
	s_wait_alu 0xf1ff
	s_delay_alu instid0(VALU_DEP_2) | instskip(SKIP_1) | instid1(VALU_DEP_2)
	v_cndmask_b32_e64 v7, 0, 1, s2
	v_cmp_gt_i32_e64 s2, 1, v5
	v_or_b32_e32 v7, v23, v7
	s_wait_alu 0xf1ff
	s_delay_alu instid0(VALU_DEP_1) | instskip(SKIP_1) | instid1(VALU_DEP_1)
	v_cndmask_b32_e64 v7, v15, v7, s2
	v_cvt_f32_f16_e32 v15, v33
	v_cvt_f64_f32_e32 v[23:24], v15
	s_delay_alu instid0(VALU_DEP_1) | instskip(NEXT) | instid1(VALU_DEP_1)
	v_mul_f64_e32 v[23:24], s[10:11], v[23:24]
	v_and_or_b32 v15, 0x1ff, v24, v23
	v_lshrrev_b32_e32 v23, 8, v24
	s_delay_alu instid0(VALU_DEP_2) | instskip(SKIP_1) | instid1(VALU_DEP_1)
	v_cmp_ne_u32_e64 s2, 0, v15
	s_wait_alu 0xf1ff
	v_cndmask_b32_e64 v15, 0, 1, s2
	s_delay_alu instid0(VALU_DEP_1) | instskip(SKIP_2) | instid1(VALU_DEP_2)
	v_and_or_b32 v23, 0xffe, v23, v15
	v_and_b32_e32 v15, 7, v7
	v_lshrrev_b32_e32 v7, 2, v7
	v_cmp_lt_i32_e64 s2, 5, v15
	v_cmp_eq_u32_e64 s3, 3, v15
	v_cndmask_b32_e64 v15, 0, 1, s0
	v_cmp_ne_u32_e64 s0, 0, v0
	v_add_nc_u32_e32 v0, 0xfffffc10, v17
	s_delay_alu instid0(VALU_DEP_4) | instskip(NEXT) | instid1(VALU_DEP_3)
	s_or_b32 s2, s3, s2
	v_or_b32_e32 v15, v18, v15
	s_wait_alu 0xfffe
	v_add_co_ci_u32_e64 v7, s2, 0, v7, s2
	v_lshl_or_b32 v17, v0, 12, v16
	v_cmp_gt_i32_e64 s4, 1, v0
	v_cmp_gt_i32_e64 s2, 31, v5
	v_cmp_ne_u32_e64 s3, 0, v16
	s_wait_alu 0xf1ff
	s_delay_alu instid0(VALU_DEP_3) | instskip(SKIP_3) | instid1(VALU_DEP_3)
	v_cndmask_b32_e64 v15, v17, v15, s4
	v_cndmask_b32_e64 v17, 0, 1, s0
	;; [unrolled: 1-line block ×3, first 2 shown]
	v_cmp_eq_u32_e64 s0, 0x40f, v5
	v_lshl_or_b32 v17, v17, 9, 0x7c00
	s_wait_alu 0xf1ff
	s_delay_alu instid0(VALU_DEP_1) | instskip(SKIP_3) | instid1(VALU_DEP_3)
	v_cndmask_b32_e64 v5, v7, v17, s0
	v_and_b32_e32 v7, 7, v15
	v_lshrrev_b32_e32 v17, 16, v8
	v_cndmask_b32_e64 v8, 0, 1, s3
	v_cmp_lt_i32_e64 s0, 5, v7
	v_cmp_eq_u32_e64 s2, 3, v7
	v_lshrrev_b32_e32 v7, 2, v15
	s_delay_alu instid0(VALU_DEP_4) | instskip(SKIP_1) | instid1(VALU_DEP_4)
	v_lshl_or_b32 v8, v8, 9, 0x7c00
	v_and_or_b32 v5, 0x8000, v17, v5
	s_or_b32 s0, s2, s0
	s_wait_alu 0xfffe
	v_add_co_ci_u32_e64 v7, s0, 0, v7, s0
	v_cmp_gt_i32_e64 s0, 31, v0
	v_and_b32_e32 v5, 0xffff, v5
	s_wait_alu 0xf1ff
	s_delay_alu instid0(VALU_DEP_2)
	v_cndmask_b32_e64 v7, 0x7c00, v7, s0
	v_cmp_eq_u32_e64 s0, 0x40f, v0
	v_cvt_f32_f16_e32 v0, v27
	v_bfe_u32 v27, v24, 20, 11
	v_lshrrev_b32_e32 v24, 16, v24
	s_wait_alu 0xf1ff
	v_cndmask_b32_e64 v18, v7, v8, s0
	v_cvt_f64_f32_e32 v[7:8], v0
	v_lshrrev_b32_e32 v0, 16, v11
	scratch_load_b32 v11, off, off offset:36 th:TH_LOAD_LU ; 4-byte Folded Reload
	v_and_or_b32 v0, 0x8000, v0, v18
	s_delay_alu instid0(VALU_DEP_1)
	v_lshl_or_b32 v0, v0, 16, v5
	global_store_b32 v[19:20], v0, off
	v_lshrrev_b32_e32 v0, 16, v4
	v_mul_f64_e32 v[15:16], s[10:11], v[7:8]
	v_sub_nc_u32_e32 v7, 0x3f1, v27
	v_or_b32_e32 v8, 0x1000, v23
	v_add_nc_u32_e32 v27, 0xfffffc10, v27
	s_delay_alu instid0(VALU_DEP_3) | instskip(NEXT) | instid1(VALU_DEP_1)
	v_med3_i32 v7, v7, 0, 13
	v_lshrrev_b32_e32 v17, v7, v8
	s_delay_alu instid0(VALU_DEP_1) | instskip(SKIP_1) | instid1(VALU_DEP_2)
	v_lshlrev_b32_e32 v5, v7, v17
	v_add_co_u32 v7, s2, v19, s6
	v_cmp_ne_u32_e64 s0, v5, v8
	s_wait_alu 0xf1ff
	v_add_co_ci_u32_e64 v8, s2, s7, v20, s2
	v_and_or_b32 v5, 0x1ff, v16, v15
	scratch_load_b32 v15, off, off offset:32 th:TH_LOAD_LU ; 4-byte Folded Reload
	v_bfe_u32 v19, v16, 20, 11
	v_cmp_ne_u32_e64 s2, 0, v5
	v_lshrrev_b32_e32 v5, 8, v16
	v_lshrrev_b32_e32 v16, 16, v16
	s_wait_loadcnt 0x1
	v_mul_f16_e32 v18, v11, v0
	v_mul_f16_e32 v11, v11, v4
	s_wait_loadcnt 0x0
	s_delay_alu instid0(VALU_DEP_2)
	v_fmac_f16_e32 v18, v15, v4
	s_wait_alu 0xf1ff
	v_cndmask_b32_e64 v4, 0, 1, s2
	v_fma_f16 v0, v15, v0, -v11
	v_cvt_f32_f16_e32 v11, v14
	v_cvt_f32_f16_e32 v18, v18
	s_delay_alu instid0(VALU_DEP_4) | instskip(SKIP_3) | instid1(VALU_DEP_4)
	v_and_or_b32 v20, 0xffe, v5, v4
	v_sub_nc_u32_e32 v4, 0x3f1, v19
	v_cvt_f32_f16_e32 v0, v0
	v_add_nc_u32_e32 v19, 0xfffffc10, v19
	v_or_b32_e32 v5, 0x1000, v20
	s_delay_alu instid0(VALU_DEP_4) | instskip(NEXT) | instid1(VALU_DEP_1)
	v_med3_i32 v4, v4, 0, 13
	v_lshrrev_b32_e32 v29, v4, v5
	s_delay_alu instid0(VALU_DEP_1) | instskip(NEXT) | instid1(VALU_DEP_1)
	v_lshlrev_b32_e32 v4, v4, v29
	v_cmp_ne_u32_e64 s2, v4, v5
	v_cvt_f64_f32_e32 v[4:5], v11
	s_delay_alu instid0(VALU_DEP_1) | instskip(NEXT) | instid1(VALU_DEP_1)
	v_mul_f64_e32 v[4:5], s[10:11], v[4:5]
	v_and_or_b32 v4, 0x1ff, v5, v4
	v_lshrrev_b32_e32 v11, 8, v5
	s_delay_alu instid0(VALU_DEP_2) | instskip(SKIP_1) | instid1(VALU_DEP_1)
	v_cmp_ne_u32_e64 s3, 0, v4
	s_wait_alu 0xf1ff
	v_cndmask_b32_e64 v4, 0, 1, s3
	s_delay_alu instid0(VALU_DEP_1) | instskip(SKIP_2) | instid1(VALU_DEP_1)
	v_and_or_b32 v4, 0xffe, v11, v4
	s_wait_alu 0xfffd
	v_cndmask_b32_e64 v11, 0, 1, vcc_lo
	v_or_b32_e32 v11, v12, v11
	v_add_nc_u32_e32 v12, 0xfffffc10, v10
	s_delay_alu instid0(VALU_DEP_1) | instskip(SKIP_2) | instid1(VALU_DEP_2)
	v_lshl_or_b32 v10, v12, 12, v2
	v_cmp_gt_i32_e32 vcc_lo, 1, v12
	s_wait_alu 0xfffd
	v_cndmask_b32_e32 v14, v10, v11, vcc_lo
	v_cvt_f32_f16_e32 v10, v28
	s_delay_alu instid0(VALU_DEP_1) | instskip(NEXT) | instid1(VALU_DEP_1)
	v_cvt_f64_f32_e32 v[10:11], v10
	v_mul_f64_e32 v[10:11], s[10:11], v[10:11]
	s_delay_alu instid0(VALU_DEP_1) | instskip(SKIP_1) | instid1(VALU_DEP_2)
	v_and_or_b32 v10, 0x1ff, v11, v10
	v_lshrrev_b32_e32 v15, 8, v11
	v_cmp_ne_u32_e32 vcc_lo, 0, v10
	s_wait_alu 0xfffd
	v_cndmask_b32_e64 v10, 0, 1, vcc_lo
	s_delay_alu instid0(VALU_DEP_1) | instskip(SKIP_2) | instid1(VALU_DEP_2)
	v_and_or_b32 v10, 0xffe, v15, v10
	v_and_b32_e32 v15, 7, v14
	v_lshrrev_b32_e32 v14, 2, v14
	v_cmp_lt_i32_e32 vcc_lo, 5, v15
	v_cmp_eq_u32_e64 s3, 3, v15
	v_cndmask_b32_e64 v15, 0, 1, s1
	v_cmp_ne_u32_e64 s1, 0, v2
	v_add_nc_u32_e32 v2, 0xfffffc10, v25
	s_delay_alu instid0(VALU_DEP_4) | instskip(NEXT) | instid1(VALU_DEP_3)
	s_or_b32 vcc_lo, s3, vcc_lo
	v_or_b32_e32 v15, v26, v15
	s_wait_alu 0xfffe
	v_add_co_ci_u32_e32 v14, vcc_lo, 0, v14, vcc_lo
	v_lshl_or_b32 v25, v2, 12, v21
	v_cmp_gt_i32_e64 s4, 1, v2
	v_cmp_gt_i32_e32 vcc_lo, 31, v12
	s_wait_alu 0xf1ff
	s_delay_alu instid0(VALU_DEP_2) | instskip(SKIP_4) | instid1(VALU_DEP_3)
	v_cndmask_b32_e64 v15, v25, v15, s4
	v_cndmask_b32_e64 v25, 0, 1, s1
	s_wait_alu 0xfffd
	v_cndmask_b32_e32 v14, 0x7c00, v14, vcc_lo
	v_cmp_eq_u32_e32 vcc_lo, 0x40f, v12
	v_lshl_or_b32 v25, v25, 9, 0x7c00
	s_wait_alu 0xfffd
	s_delay_alu instid0(VALU_DEP_1) | instskip(SKIP_2) | instid1(VALU_DEP_3)
	v_cndmask_b32_e32 v12, v14, v25, vcc_lo
	v_and_b32_e32 v14, 7, v15
	v_lshrrev_b32_e32 v15, 2, v15
	v_and_or_b32 v25, 0x8000, v13, v12
	s_delay_alu instid0(VALU_DEP_3) | instskip(SKIP_2) | instid1(VALU_DEP_4)
	v_cmp_lt_i32_e32 vcc_lo, 5, v14
	v_cmp_eq_u32_e64 s1, 3, v14
	v_bfe_u32 v14, v5, 20, 11
	v_and_b32_e32 v25, 0xffff, v25
	s_delay_alu instid0(VALU_DEP_3) | instskip(NEXT) | instid1(VALU_DEP_2)
	s_or_b32 vcc_lo, s1, vcc_lo
	v_sub_nc_u32_e32 v12, 0x3f1, v14
	s_wait_alu 0xfffe
	v_add_co_ci_u32_e32 v13, vcc_lo, 0, v15, vcc_lo
	v_cmp_ne_u32_e32 vcc_lo, 0, v21
	s_delay_alu instid0(VALU_DEP_3) | instskip(SKIP_3) | instid1(VALU_DEP_2)
	v_med3_i32 v12, v12, 0, 13
	s_wait_alu 0xfffd
	v_cndmask_b32_e64 v15, 0, 1, vcc_lo
	v_cmp_gt_i32_e32 vcc_lo, 31, v2
	v_lshl_or_b32 v15, v15, 9, 0x7c00
	s_wait_alu 0xfffd
	v_cndmask_b32_e32 v13, 0x7c00, v13, vcc_lo
	v_cmp_eq_u32_e32 vcc_lo, 0x40f, v2
	v_or_b32_e32 v2, 0x1000, v4
	s_wait_alu 0xfffd
	s_delay_alu instid0(VALU_DEP_3) | instskip(NEXT) | instid1(VALU_DEP_2)
	v_cndmask_b32_e32 v15, v13, v15, vcc_lo
	v_lshrrev_b32_e32 v21, v12, v2
	v_cndmask_b32_e64 v13, 0, 1, s0
	s_delay_alu instid0(VALU_DEP_2) | instskip(NEXT) | instid1(VALU_DEP_2)
	v_lshlrev_b32_e32 v26, v12, v21
	v_or_b32_e32 v17, v17, v13
	v_cvt_f64_f32_e32 v[12:13], v18
	v_add_nc_u32_e32 v18, 0xfffffc10, v14
	v_and_or_b32 v14, 0x8000, v22, v15
	v_cmp_ne_u32_e32 vcc_lo, v26, v2
	v_lshl_or_b32 v15, v27, 12, v23
	v_bfe_u32 v22, v11, 20, 11
	s_delay_alu instid0(VALU_DEP_4)
	v_lshl_or_b32 v25, v14, 16, v25
	s_wait_alu 0xfffd
	v_cndmask_b32_e64 v2, 0, 1, vcc_lo
	v_cmp_gt_i32_e32 vcc_lo, 1, v27
	global_store_b32 v[7:8], v25, off
	v_or_b32_e32 v2, v21, v2
	v_lshl_or_b32 v21, v18, 12, v4
	s_wait_alu 0xfffd
	v_cndmask_b32_e32 v15, v15, v17, vcc_lo
	v_cmp_gt_i32_e32 vcc_lo, 1, v18
	v_sub_nc_u32_e32 v17, 0x3f1, v22
	s_wait_alu 0xfffd
	s_delay_alu instid0(VALU_DEP_3) | instskip(SKIP_1) | instid1(VALU_DEP_3)
	v_dual_cndmask_b32 v2, v21, v2 :: v_dual_and_b32 v21, 7, v15
	v_lshrrev_b32_e32 v15, 2, v15
	v_med3_i32 v17, v17, 0, 13
	s_delay_alu instid0(VALU_DEP_3) | instskip(NEXT) | instid1(VALU_DEP_4)
	v_and_b32_e32 v14, 7, v2
	v_cmp_lt_i32_e32 vcc_lo, 5, v21
	v_cmp_eq_u32_e64 s0, 3, v21
	v_or_b32_e32 v21, 0x1000, v10
	v_lshrrev_b32_e32 v2, 2, v2
	v_cmp_lt_i32_e64 s1, 5, v14
	v_cmp_eq_u32_e64 s3, 3, v14
	s_or_b32 vcc_lo, s0, vcc_lo
	s_wait_alu 0xfffe
	v_add_co_ci_u32_e32 v14, vcc_lo, 0, v15, vcc_lo
	v_cmp_ne_u32_e32 vcc_lo, 0, v23
	v_mul_f64_e32 v[12:13], s[10:11], v[12:13]
	v_lshrrev_b32_e32 v23, v17, v21
	s_wait_alu 0xfffd
	v_cndmask_b32_e64 v15, 0, 1, vcc_lo
	v_cmp_gt_i32_e32 vcc_lo, 31, v27
	s_delay_alu instid0(VALU_DEP_2)
	v_lshl_or_b32 v28, v15, 9, 0x7c00
	s_wait_alu 0xfffd
	v_cndmask_b32_e32 v26, 0x7c00, v14, vcc_lo
	v_cmp_eq_u32_e32 vcc_lo, 0x40f, v27
	v_cvt_f64_f32_e32 v[14:15], v0
	v_lshlrev_b32_e32 v0, v17, v23
	v_lshl_or_b32 v27, v19, 12, v20
	s_wait_alu 0xfffd
	v_cndmask_b32_e32 v17, v26, v28, vcc_lo
	s_or_b32 vcc_lo, s3, s1
	v_cndmask_b32_e64 v26, 0, 1, s2
	s_wait_alu 0xfffe
	v_add_co_ci_u32_e32 v2, vcc_lo, 0, v2, vcc_lo
	v_cmp_ne_u32_e32 vcc_lo, 0, v4
	v_and_or_b32 v17, 0x8000, v24, v17
	v_or_b32_e32 v26, v29, v26
	scratch_load_b32 v24, off, off offset:28 th:TH_LOAD_LU ; 4-byte Folded Reload
	s_wait_alu 0xfffd
	v_cndmask_b32_e64 v4, 0, 1, vcc_lo
	v_cmp_gt_i32_e32 vcc_lo, 31, v18
	v_and_b32_e32 v17, 0xffff, v17
	s_delay_alu instid0(VALU_DEP_3)
	v_lshl_or_b32 v4, v4, 9, 0x7c00
	s_wait_alu 0xfffd
	v_cndmask_b32_e32 v2, 0x7c00, v2, vcc_lo
	v_cmp_gt_i32_e32 vcc_lo, 1, v19
	s_wait_alu 0xfffd
	v_cndmask_b32_e32 v26, v27, v26, vcc_lo
	v_cmp_eq_u32_e32 vcc_lo, 0x40f, v18
	v_add_nc_u32_e32 v18, 0xfffffc10, v22
	s_wait_alu 0xfffd
	v_cndmask_b32_e32 v2, v2, v4, vcc_lo
	v_lshrrev_b32_e32 v4, 16, v5
	v_and_b32_e32 v5, 7, v26
	v_cmp_ne_u32_e32 vcc_lo, v0, v21
	v_lshl_or_b32 v21, v18, 12, v10
	v_cmp_gt_i32_e64 s0, 1, v18
	v_and_or_b32 v2, 0x8000, v4, v2
	v_and_or_b32 v4, 0x1ff, v13, v12
	v_lshrrev_b32_e32 v12, 2, v26
	scratch_load_b32 v26, off, off offset:24 th:TH_LOAD_LU ; 4-byte Folded Reload
	s_wait_alu 0xfffd
	v_cndmask_b32_e64 v0, 0, 1, vcc_lo
	v_mul_f64_e32 v[14:15], s[10:11], v[14:15]
	v_cmp_lt_i32_e32 vcc_lo, 5, v5
	v_cmp_ne_u32_e64 s1, 0, v4
	v_lshl_or_b32 v2, v2, 16, v17
	v_or_b32_e32 v0, v23, v0
	s_wait_alu 0xf1ff
	s_delay_alu instid0(VALU_DEP_3) | instskip(NEXT) | instid1(VALU_DEP_2)
	v_cndmask_b32_e64 v4, 0, 1, s1
	v_cndmask_b32_e64 v0, v21, v0, s0
	v_cmp_eq_u32_e64 s0, 3, v5
	v_lshrrev_b32_e32 v21, 16, v9
	s_delay_alu instid0(VALU_DEP_3) | instskip(NEXT) | instid1(VALU_DEP_3)
	v_and_b32_e32 v5, 7, v0
	s_or_b32 vcc_lo, s0, vcc_lo
	v_lshrrev_b32_e32 v0, 2, v0
	s_wait_alu 0xfffe
	v_add_co_ci_u32_e32 v12, vcc_lo, 0, v12, vcc_lo
	v_cmp_lt_i32_e64 s1, 5, v5
	v_cmp_eq_u32_e64 s2, 3, v5
	v_lshrrev_b32_e32 v5, 8, v13
	v_cmp_ne_u32_e32 vcc_lo, 0, v20
	v_bfe_u32 v20, v13, 20, 11
	s_delay_alu instid0(VALU_DEP_3) | instskip(SKIP_3) | instid1(VALU_DEP_3)
	v_and_or_b32 v23, 0xffe, v5, v4
	s_wait_alu 0xfffd
	v_cndmask_b32_e64 v4, 0, 1, vcc_lo
	v_cmp_gt_i32_e32 vcc_lo, 31, v19
	v_or_b32_e32 v25, 0x1000, v23
	s_wait_alu 0xfffd
	v_cndmask_b32_e32 v12, 0x7c00, v12, vcc_lo
	v_cmp_eq_u32_e32 vcc_lo, 0x40f, v19
	v_and_or_b32 v14, 0x1ff, v15, v14
	s_wait_loadcnt 0x1
	v_mul_f16_e32 v22, v24, v21
	s_wait_loadcnt 0x0
	s_delay_alu instid0(VALU_DEP_1) | instskip(SKIP_3) | instid1(VALU_DEP_4)
	v_fmac_f16_e32 v22, v26, v9
	v_mul_f16_e32 v9, v24, v9
	v_sub_nc_u32_e32 v24, 0x3f1, v20
	v_add_nc_u32_e32 v20, 0xfffffc10, v20
	v_cvt_f32_f16_e32 v5, v22
	v_lshl_or_b32 v22, v4, 9, 0x7c00
	s_delay_alu instid0(VALU_DEP_4)
	v_med3_i32 v24, v24, 0, 13
	v_fma_f16 v9, v26, v21, -v9
	v_bfe_u32 v26, v15, 20, 11
	v_cvt_f64_f32_e32 v[4:5], v5
	s_wait_alu 0xfffd
	v_cndmask_b32_e32 v19, v12, v22, vcc_lo
	s_or_b32 vcc_lo, s2, s1
	v_lshrrev_b32_e32 v12, v24, v25
	s_wait_alu 0xfffe
	v_add_co_ci_u32_e32 v0, vcc_lo, 0, v0, vcc_lo
	v_cmp_ne_u32_e32 vcc_lo, 0, v10
	v_cvt_f32_f16_e32 v9, v9
	v_lshlrev_b32_e32 v21, v24, v12
	v_lshrrev_b32_e32 v24, 8, v15
	v_lshrrev_b32_e32 v15, 16, v15
	s_wait_alu 0xfffd
	v_cndmask_b32_e64 v10, 0, 1, vcc_lo
	v_cmp_gt_i32_e32 vcc_lo, 31, v18
	s_delay_alu instid0(VALU_DEP_2)
	v_lshl_or_b32 v22, v10, 9, 0x7c00
	s_wait_alu 0xfffd
	v_cndmask_b32_e32 v0, 0x7c00, v0, vcc_lo
	v_cmp_ne_u32_e32 vcc_lo, 0, v14
	v_cvt_f64_f32_e32 v[9:10], v9
	s_wait_alu 0xfffd
	v_cndmask_b32_e64 v14, 0, 1, vcc_lo
	v_cmp_ne_u32_e32 vcc_lo, v21, v25
	v_lshrrev_b32_e32 v25, 16, v11
	s_delay_alu instid0(VALU_DEP_3) | instskip(SKIP_4) | instid1(VALU_DEP_3)
	v_and_or_b32 v14, 0xffe, v24, v14
	s_wait_alu 0xfffd
	v_cndmask_b32_e64 v21, 0, 1, vcc_lo
	v_cmp_eq_u32_e32 vcc_lo, 0x40f, v18
	v_sub_nc_u32_e32 v24, 0x3f1, v26
	v_or_b32_e32 v18, v12, v21
	s_wait_alu 0xfffd
	v_cndmask_b32_e32 v0, v0, v22, vcc_lo
	v_lshl_or_b32 v21, v20, 12, v23
	v_cmp_gt_i32_e32 vcc_lo, 1, v20
	v_mul_f64_e32 v[11:12], s[10:11], v[4:5]
	v_or_b32_e32 v22, 0x1000, v14
	v_and_or_b32 v0, 0x8000, v25, v0
	scratch_load_b32 v25, off, off offset:20 th:TH_LOAD_LU ; 4-byte Folded Reload
	s_wait_alu 0xfffd
	v_cndmask_b32_e32 v5, v21, v18, vcc_lo
	v_add_nc_u32_e32 v21, 0xfffffc10, v26
	scratch_load_b32 v26, off, off offset:16 th:TH_LOAD_LU ; 4-byte Folded Reload
	v_med3_i32 v24, v24, 0, 13
	v_and_or_b32 v4, 0x8000, v16, v19
	v_and_b32_e32 v17, 7, v5
	v_add_co_u32 v7, vcc_lo, v7, s8
	s_delay_alu instid0(VALU_DEP_4)
	v_lshrrev_b32_e32 v16, v24, v22
	s_wait_alu 0xfffd
	v_add_co_ci_u32_e32 v8, vcc_lo, s9, v8, vcc_lo
	v_cmp_lt_i32_e32 vcc_lo, 5, v17
	v_cmp_eq_u32_e64 s0, 3, v17
	v_lshlrev_b32_e32 v18, v24, v16
	v_lshrrev_b32_e32 v19, 16, v6
	v_lshrrev_b32_e32 v5, 2, v5
	v_mul_f64_e32 v[9:10], s[10:11], v[9:10]
	s_or_b32 vcc_lo, s0, vcc_lo
	v_cmp_ne_u32_e64 s1, v18, v22
	v_lshl_or_b32 v22, v21, 12, v14
	s_wait_alu 0xfffe
	v_add_co_ci_u32_e32 v5, vcc_lo, 0, v5, vcc_lo
	v_cmp_ne_u32_e32 vcc_lo, 0, v23
	s_wait_alu 0xf1ff
	v_cndmask_b32_e64 v18, 0, 1, s1
	v_and_b32_e32 v4, 0xffff, v4
	s_wait_alu 0xfffd
	v_cndmask_b32_e64 v23, 0, 1, vcc_lo
	s_delay_alu instid0(VALU_DEP_3) | instskip(SKIP_2) | instid1(VALU_DEP_4)
	v_or_b32_e32 v18, v16, v18
	v_cmp_gt_i32_e32 vcc_lo, 1, v21
	v_lshl_or_b32 v0, v0, 16, v4
	v_lshl_or_b32 v23, v23, 9, 0x7c00
	s_wait_alu 0xfffd
	v_cndmask_b32_e32 v18, v22, v18, vcc_lo
	v_cmp_gt_i32_e32 vcc_lo, 31, v20
	v_and_or_b32 v11, 0x1ff, v12, v11
	s_delay_alu instid0(VALU_DEP_3)
	v_and_b32_e32 v24, 7, v18
	s_wait_alu 0xfffd
	v_cndmask_b32_e32 v22, 0x7c00, v5, vcc_lo
	v_add_co_u32 v4, vcc_lo, v7, s6
	s_wait_alu 0xfffd
	v_add_co_ci_u32_e32 v5, vcc_lo, s7, v8, vcc_lo
	v_cmp_eq_u32_e32 vcc_lo, 0x40f, v20
	v_cmp_ne_u32_e64 s0, 0, v11
	s_wait_alu 0xfffd
	v_cndmask_b32_e32 v20, v22, v23, vcc_lo
	v_cmp_lt_i32_e32 vcc_lo, 5, v24
	s_wait_alu 0xf1ff
	v_cndmask_b32_e64 v11, 0, 1, s0
	v_cmp_eq_u32_e64 s0, 3, v24
	v_lshrrev_b32_e32 v24, 16, v13
	v_lshrrev_b32_e32 v13, 2, v18
	v_and_or_b32 v9, 0x1ff, v10, v9
	v_lshrrev_b32_e32 v27, 8, v10
	s_or_b32 vcc_lo, s0, vcc_lo
	v_and_or_b32 v20, 0x8000, v24, v20
	s_wait_alu 0xfffe
	v_add_co_ci_u32_e32 v13, vcc_lo, 0, v13, vcc_lo
	v_cmp_ne_u32_e32 vcc_lo, 0, v14
	scratch_load_b32 v24, off, off offset:8 th:TH_LOAD_LU ; 4-byte Folded Reload
	v_lshrrev_b32_e32 v22, 8, v12
	v_bfe_u32 v23, v12, 20, 11
	v_bfe_u32 v28, v10, 20, 11
	s_wait_alu 0xfffd
	v_cndmask_b32_e64 v14, 0, 1, vcc_lo
	v_cmp_gt_i32_e32 vcc_lo, 31, v21
	v_and_or_b32 v11, 0xffe, v22, v11
	v_sub_nc_u32_e32 v18, 0x3f1, v23
	v_lshrrev_b32_e32 v12, 16, v12
	v_lshrrev_b32_e32 v10, 16, v10
	s_delay_alu instid0(VALU_DEP_4) | instskip(NEXT) | instid1(VALU_DEP_4)
	v_or_b32_e32 v22, 0x1000, v11
	v_med3_i32 v18, v18, 0, 13
	s_wait_loadcnt 0x2
	v_mul_f16_e32 v17, v25, v19
	s_wait_loadcnt 0x1
	s_delay_alu instid0(VALU_DEP_1) | instskip(SKIP_2) | instid1(VALU_DEP_3)
	v_fmac_f16_e32 v17, v26, v6
	v_mul_f16_e32 v6, v25, v6
	v_lshrrev_b32_e32 v25, v18, v22
	v_cvt_f32_f16_e32 v16, v17
	s_delay_alu instid0(VALU_DEP_3)
	v_fma_f16 v6, v26, v19, -v6
	s_wait_alu 0xfffd
	v_cndmask_b32_e32 v19, 0x7c00, v13, vcc_lo
	v_cmp_ne_u32_e32 vcc_lo, 0, v9
	v_lshl_or_b32 v26, v14, 9, 0x7c00
	v_cvt_f64_f32_e32 v[16:17], v16
	v_cvt_f32_f16_e32 v6, v6
	v_lshlrev_b32_e32 v18, v18, v25
	s_wait_alu 0xfffd
	v_cndmask_b32_e64 v9, 0, 1, vcc_lo
	v_cmp_eq_u32_e32 vcc_lo, 0x40f, v21
	v_add_nc_u32_e32 v21, 0xfffffc10, v23
	s_delay_alu instid0(VALU_DEP_1)
	v_lshl_or_b32 v23, v21, 12, v11
	v_mul_f64_e32 v[13:14], s[10:11], v[16:17]
	v_cvt_f64_f32_e32 v[16:17], v6
	s_wait_alu 0xfffd
	v_cndmask_b32_e32 v6, v19, v26, vcc_lo
	v_and_or_b32 v19, 0xffe, v27, v9
	scratch_load_b32 v27, off, off offset:12 th:TH_LOAD_LU ; 4-byte Folded Reload
	v_cmp_ne_u32_e32 vcc_lo, v18, v22
	v_sub_nc_u32_e32 v9, 0x3f1, v28
	v_and_or_b32 v6, 0x8000, v15, v6
	v_or_b32_e32 v22, 0x1000, v19
	v_and_b32_e32 v15, 0xffff, v20
	s_wait_alu 0xfffd
	v_cndmask_b32_e64 v18, 0, 1, vcc_lo
	v_med3_i32 v9, v9, 0, 13
	v_cmp_gt_i32_e32 vcc_lo, 1, v21
	global_store_b32 v[7:8], v2, off
	global_store_b32 v[4:5], v0, off
	v_lshl_or_b32 v0, v6, 16, v15
	v_or_b32_e32 v18, v25, v18
	v_lshrrev_b32_e32 v25, 16, v1
	v_lshrrev_b32_e32 v26, v9, v22
	s_wait_alu 0xfffd
	s_delay_alu instid0(VALU_DEP_3) | instskip(NEXT) | instid1(VALU_DEP_2)
	v_dual_cndmask_b32 v18, v23, v18 :: v_dual_add_nc_u32 v15, 0xfffffc10, v28
	v_lshlrev_b32_e32 v9, v9, v26
	s_delay_alu instid0(VALU_DEP_2) | instskip(NEXT) | instid1(VALU_DEP_2)
	v_and_b32_e32 v20, 7, v18
	v_cmp_ne_u32_e64 s0, v9, v22
	s_delay_alu instid0(VALU_DEP_2) | instskip(SKIP_1) | instid1(VALU_DEP_2)
	v_cmp_lt_i32_e32 vcc_lo, 5, v20
	s_wait_alu 0xf1ff
	v_cndmask_b32_e64 v8, 0, 1, s0
	v_cmp_eq_u32_e64 s0, 3, v20
	v_lshl_or_b32 v20, v15, 12, v19
	s_delay_alu instid0(VALU_DEP_2) | instskip(SKIP_2) | instid1(VALU_DEP_1)
	s_or_b32 vcc_lo, s0, vcc_lo
	s_wait_loadcnt 0x0
	v_mul_f16_e32 v23, v27, v25
	v_fmac_f16_e32 v23, v24, v1
	v_mul_f16_e32 v1, v27, v1
	s_delay_alu instid0(VALU_DEP_2) | instskip(NEXT) | instid1(VALU_DEP_2)
	v_cvt_f32_f16_e32 v2, v23
	v_fma_f16 v1, v24, v25, -v1
	scratch_load_b32 v24, off, off th:TH_LOAD_LU ; 4-byte Folded Reload
	v_cvt_f64_f32_e32 v[6:7], v2
	v_and_or_b32 v2, 0x1ff, v14, v13
	v_lshrrev_b32_e32 v13, 2, v18
	v_or_b32_e32 v18, v26, v8
	v_mul_f64_e32 v[8:9], s[10:11], v[16:17]
	v_lshrrev_b32_e32 v16, 8, v14
	v_cmp_ne_u32_e64 s1, 0, v2
	s_wait_alu 0xfffe
	v_add_co_ci_u32_e32 v13, vcc_lo, 0, v13, vcc_lo
	v_cmp_gt_i32_e32 vcc_lo, 1, v15
	v_bfe_u32 v17, v14, 20, 11
	s_wait_alu 0xf1ff
	v_cndmask_b32_e64 v2, 0, 1, s1
	v_cmp_eq_u32_e64 s1, 0x40f, v21
	v_cvt_f32_f16_e32 v1, v1
	s_wait_alu 0xfffd
	v_cndmask_b32_e32 v18, v20, v18, vcc_lo
	v_cmp_ne_u32_e32 vcc_lo, 0, v11
	v_and_or_b32 v16, 0xffe, v16, v2
	v_sub_nc_u32_e32 v2, 0x3f1, v17
	v_add_nc_u32_e32 v17, 0xfffffc10, v17
	v_and_b32_e32 v20, 7, v18
	s_wait_alu 0xfffd
	v_cndmask_b32_e64 v11, 0, 1, vcc_lo
	v_cmp_gt_i32_e32 vcc_lo, 31, v21
	v_or_b32_e32 v22, 0x1000, v16
	v_med3_i32 v2, v2, 0, 13
	v_cmp_eq_u32_e64 s0, 3, v20
	v_lshl_or_b32 v11, v11, 9, 0x7c00
	s_wait_alu 0xfffd
	v_cndmask_b32_e32 v13, 0x7c00, v13, vcc_lo
	v_cmp_lt_i32_e32 vcc_lo, 5, v20
	v_lshrrev_b32_e32 v18, 2, v18
	v_lshrrev_b32_e32 v23, v2, v22
	;; [unrolled: 1-line block ×3, first 2 shown]
	s_wait_alu 0xf1ff
	v_cndmask_b32_e64 v11, v13, v11, s1
	s_or_b32 vcc_lo, s0, vcc_lo
	v_lshrrev_b32_e32 v14, 16, v14
	s_wait_alu 0xfffe
	v_add_co_ci_u32_e32 v13, vcc_lo, 0, v18, vcc_lo
	v_lshlrev_b32_e32 v2, v2, v23
	v_cmp_ne_u32_e32 vcc_lo, 0, v19
	v_mul_f64_e32 v[6:7], s[10:11], v[6:7]
	v_lshl_or_b32 v19, v17, 12, v16
	v_and_or_b32 v20, 0x8000, v12, v11
	s_wait_alu 0xfffd
	v_cndmask_b32_e64 v18, 0, 1, vcc_lo
	v_cmp_ne_u32_e32 vcc_lo, v2, v22
	v_and_or_b32 v8, 0x1ff, v9, v8
	v_lshrrev_b32_e32 v12, 8, v9
	v_and_b32_e32 v20, 0xffff, v20
	v_lshl_or_b32 v18, v18, 9, 0x7c00
	s_wait_alu 0xfffd
	v_cndmask_b32_e64 v2, 0, 1, vcc_lo
	v_cmp_gt_i32_e32 vcc_lo, 31, v15
	s_delay_alu instid0(VALU_DEP_2)
	v_or_b32_e32 v2, v23, v2
	scratch_load_b32 v23, off, off offset:4 th:TH_LOAD_LU ; 4-byte Folded Reload
	s_wait_alu 0xfffd
	v_cndmask_b32_e32 v13, 0x7c00, v13, vcc_lo
	v_cmp_gt_i32_e32 vcc_lo, 1, v17
	s_wait_alu 0xfffd
	v_cndmask_b32_e32 v11, v19, v2, vcc_lo
	v_cmp_ne_u32_e32 vcc_lo, 0, v8
	v_cvt_f64_f32_e32 v[1:2], v1
	v_bfe_u32 v19, v9, 20, 11
	v_lshrrev_b32_e32 v9, 16, v9
	s_wait_alu 0xfffd
	v_cndmask_b32_e64 v8, 0, 1, vcc_lo
	v_cmp_eq_u32_e32 vcc_lo, 0x40f, v15
	v_and_b32_e32 v15, 7, v11
	s_delay_alu instid0(VALU_DEP_3)
	v_and_or_b32 v8, 0xffe, v12, v8
	s_wait_alu 0xfffd
	v_cndmask_b32_e32 v13, v13, v18, vcc_lo
	v_sub_nc_u32_e32 v12, 0x3f1, v19
	v_cmp_lt_i32_e32 vcc_lo, 5, v15
	v_cmp_eq_u32_e64 s0, 3, v15
	v_or_b32_e32 v22, 0x1000, v8
	v_and_or_b32 v15, 0x8000, v10, v13
	v_lshrrev_b32_e32 v10, 2, v11
	v_med3_i32 v12, v12, 0, 13
	s_or_b32 vcc_lo, s0, vcc_lo
	v_and_or_b32 v6, 0x1ff, v7, v6
	v_add_nc_u32_e32 v19, 0xfffffc10, v19
	v_lshl_or_b32 v15, v15, 16, v20
	v_lshrrev_b32_e32 v13, v12, v22
	s_delay_alu instid0(VALU_DEP_1) | instskip(SKIP_1) | instid1(VALU_DEP_1)
	v_lshlrev_b32_e32 v12, v12, v13
	v_mul_f64_e32 v[1:2], s[10:11], v[1:2]
	v_and_or_b32 v1, 0x1ff, v2, v1
	s_wait_loadcnt 0x0
	v_mul_f16_e32 v18, v23, v21
	s_delay_alu instid0(VALU_DEP_1) | instskip(SKIP_2) | instid1(VALU_DEP_3)
	v_fmac_f16_e32 v18, v24, v3
	v_mul_f16_e32 v3, v23, v3
	v_lshrrev_b32_e32 v23, 8, v7
	v_cvt_f32_f16_e32 v11, v18
	s_wait_alu 0xfffe
	v_add_co_ci_u32_e32 v18, vcc_lo, 0, v10, vcc_lo
	v_cmp_ne_u32_e32 vcc_lo, 0, v16
	v_fma_f16 v3, v24, v21, -v3
	v_cvt_f64_f32_e32 v[10:11], v11
	v_bfe_u32 v21, v7, 20, 11
	v_lshl_or_b32 v24, v19, 12, v8
	s_wait_alu 0xfffd
	v_cndmask_b32_e64 v16, 0, 1, vcc_lo
	v_cmp_ne_u32_e32 vcc_lo, 0, v6
	v_cvt_f32_f16_e32 v3, v3
	v_lshrrev_b32_e32 v7, 16, v7
	s_delay_alu instid0(VALU_DEP_4) | instskip(SKIP_3) | instid1(VALU_DEP_2)
	v_lshl_or_b32 v16, v16, 9, 0x7c00
	s_wait_alu 0xfffd
	v_cndmask_b32_e64 v6, 0, 1, vcc_lo
	v_cmp_ne_u32_e32 vcc_lo, v12, v22
	v_and_or_b32 v22, 0xffe, v23, v6
	s_wait_alu 0xfffd
	v_cndmask_b32_e64 v12, 0, 1, vcc_lo
	v_cmp_gt_i32_e32 vcc_lo, 31, v17
	v_sub_nc_u32_e32 v6, 0x3f1, v21
	v_or_b32_e32 v25, 0x1000, v22
	s_delay_alu instid0(VALU_DEP_4)
	v_or_b32_e32 v23, v13, v12
	v_cvt_f64_f32_e32 v[12:13], v3
	s_wait_alu 0xfffd
	v_cndmask_b32_e32 v18, 0x7c00, v18, vcc_lo
	v_cmp_gt_i32_e32 vcc_lo, 1, v19
	v_med3_i32 v6, v6, 0, 13
	s_wait_alu 0xfffd
	v_cndmask_b32_e32 v23, v24, v23, vcc_lo
	v_add_co_u32 v3, vcc_lo, v4, s6
	s_wait_alu 0xfffd
	v_add_co_ci_u32_e32 v4, vcc_lo, s7, v5, vcc_lo
	s_delay_alu instid0(VALU_DEP_3) | instskip(SKIP_3) | instid1(VALU_DEP_4)
	v_and_b32_e32 v5, 7, v23
	v_cmp_eq_u32_e32 vcc_lo, 0x40f, v17
	v_lshrrev_b32_e32 v26, v6, v25
	v_add_nc_u32_e32 v17, 0xfffffc10, v21
	v_cmp_eq_u32_e64 s0, 3, v5
	s_wait_alu 0xfffd
	v_cndmask_b32_e32 v16, v18, v16, vcc_lo
	v_cmp_lt_i32_e32 vcc_lo, 5, v5
	v_lshlrev_b32_e32 v24, v6, v26
	v_mul_f64_e32 v[5:6], s[10:11], v[10:11]
	v_lshrrev_b32_e32 v10, 2, v23
	v_lshl_or_b32 v20, v17, 12, v22
	s_or_b32 vcc_lo, s0, vcc_lo
	v_cmp_ne_u32_e64 s1, v24, v25
	v_bfe_u32 v23, v2, 20, 11
	s_wait_alu 0xfffe
	v_add_co_ci_u32_e32 v10, vcc_lo, 0, v10, vcc_lo
	v_cmp_ne_u32_e32 vcc_lo, 0, v8
	s_wait_alu 0xf1ff
	v_cndmask_b32_e64 v11, 0, 1, s1
	v_and_or_b32 v14, 0x8000, v14, v16
	s_wait_alu 0xfffd
	v_cndmask_b32_e64 v8, 0, 1, vcc_lo
	v_cmp_gt_i32_e32 vcc_lo, 31, v19
	v_or_b32_e32 v18, v26, v11
	v_and_b32_e32 v14, 0xffff, v14
	s_delay_alu instid0(VALU_DEP_4)
	v_lshl_or_b32 v8, v8, 9, 0x7c00
	s_wait_alu 0xfffd
	v_cndmask_b32_e32 v21, 0x7c00, v10, vcc_lo
	v_mul_f64_e32 v[10:11], s[10:11], v[12:13]
	v_add_co_u32 v12, vcc_lo, v3, s6
	s_wait_alu 0xfffd
	v_add_co_ci_u32_e32 v13, vcc_lo, s7, v4, vcc_lo
	v_cmp_gt_i32_e32 vcc_lo, 1, v17
	s_wait_alu 0xfffd
	v_cndmask_b32_e32 v18, v20, v18, vcc_lo
	v_cmp_ne_u32_e32 vcc_lo, 0, v1
	v_lshrrev_b32_e32 v20, 8, v2
	v_lshrrev_b32_e32 v2, 16, v2
	s_wait_alu 0xfffd
	v_cndmask_b32_e64 v1, 0, 1, vcc_lo
	v_cmp_eq_u32_e32 vcc_lo, 0x40f, v19
	v_and_b32_e32 v19, 7, v18
	v_lshrrev_b32_e32 v18, 2, v18
	v_and_or_b32 v5, 0x1ff, v6, v5
	v_and_or_b32 v1, 0xffe, v20, v1
	s_wait_alu 0xfffd
	v_cndmask_b32_e32 v8, v21, v8, vcc_lo
	v_sub_nc_u32_e32 v20, 0x3f1, v23
	v_cmp_lt_i32_e32 vcc_lo, 5, v19
	v_cmp_eq_u32_e64 s0, 3, v19
	v_bfe_u32 v21, v6, 20, 11
	v_and_or_b32 v8, 0x8000, v9, v8
	v_or_b32_e32 v9, 0x1000, v1
	v_med3_i32 v16, v20, 0, 13
	s_or_b32 vcc_lo, s0, vcc_lo
	v_lshrrev_b32_e32 v20, 8, v6
	s_wait_alu 0xfffe
	v_add_co_ci_u32_e32 v18, vcc_lo, 0, v18, vcc_lo
	v_lshrrev_b32_e32 v19, v16, v9
	v_cmp_ne_u32_e32 vcc_lo, 0, v5
	v_lshrrev_b32_e32 v6, 16, v6
	v_lshl_or_b32 v14, v8, 16, v14
	v_and_or_b32 v10, 0x1ff, v11, v10
	v_lshlrev_b32_e32 v16, v16, v19
	s_wait_alu 0xfffd
	v_cndmask_b32_e64 v5, 0, 1, vcc_lo
	v_cmp_ne_u32_e32 vcc_lo, 0, v22
	v_lshrrev_b32_e32 v24, 8, v11
	v_bfe_u32 v25, v11, 20, 11
	s_delay_alu instid0(VALU_DEP_4)
	v_and_or_b32 v5, 0xffe, v20, v5
	s_wait_alu 0xfffd
	v_cndmask_b32_e64 v22, 0, 1, vcc_lo
	v_cmp_ne_u32_e32 vcc_lo, v16, v9
	v_sub_nc_u32_e32 v20, 0x3f1, v21
	v_add_nc_u32_e32 v16, 0xfffffc10, v23
	v_or_b32_e32 v23, 0x1000, v5
	s_wait_alu 0xfffd
	v_cndmask_b32_e64 v9, 0, 1, vcc_lo
	v_cmp_gt_i32_e32 vcc_lo, 31, v17
	v_med3_i32 v20, v20, 0, 13
	s_delay_alu instid0(VALU_DEP_3)
	v_or_b32_e32 v9, v19, v9
	s_wait_alu 0xfffd
	v_cndmask_b32_e32 v18, 0x7c00, v18, vcc_lo
	v_cmp_ne_u32_e32 vcc_lo, 0, v10
	v_lshl_or_b32 v19, v16, 12, v1
	v_lshrrev_b32_e32 v26, v20, v23
	s_wait_alu 0xfffd
	v_cndmask_b32_e64 v10, 0, 1, vcc_lo
	v_cmp_gt_i32_e32 vcc_lo, 1, v16
	s_delay_alu instid0(VALU_DEP_3) | instskip(NEXT) | instid1(VALU_DEP_3)
	v_lshlrev_b32_e32 v20, v20, v26
	v_and_or_b32 v10, 0xffe, v24, v10
	v_sub_nc_u32_e32 v24, 0x3f1, v25
	s_wait_alu 0xfffd
	v_cndmask_b32_e32 v9, v19, v9, vcc_lo
	v_lshl_or_b32 v19, v22, 9, 0x7c00
	v_cmp_eq_u32_e32 vcc_lo, 0x40f, v17
	v_or_b32_e32 v22, 0x1000, v10
	v_med3_i32 v24, v24, 0, 13
	v_and_b32_e32 v27, 7, v9
	v_lshrrev_b32_e32 v9, 2, v9
	s_wait_alu 0xfffd
	v_cndmask_b32_e32 v17, v18, v19, vcc_lo
	v_cmp_ne_u32_e32 vcc_lo, v20, v23
	v_add_nc_u32_e32 v19, 0xfffffc10, v21
	v_lshrrev_b32_e32 v20, v24, v22
	v_cmp_eq_u32_e64 s0, 3, v27
	v_and_or_b32 v7, 0x8000, v7, v17
	s_wait_alu 0xfffd
	v_cndmask_b32_e64 v18, 0, 1, vcc_lo
	v_lshl_or_b32 v21, v19, 12, v5
	v_lshlrev_b32_e32 v23, v24, v20
	v_cmp_gt_i32_e64 s1, 1, v19
	v_cmp_lt_i32_e32 vcc_lo, 5, v27
	v_or_b32_e32 v18, v26, v18
	v_and_b32_e32 v7, 0xffff, v7
	s_or_b32 vcc_lo, s0, vcc_lo
	s_delay_alu instid0(VALU_DEP_2)
	v_cndmask_b32_e64 v18, v21, v18, s1
	v_cmp_ne_u32_e64 s1, v23, v22
	v_add_nc_u32_e32 v22, 0xfffffc10, v25
	s_wait_alu 0xfffe
	v_add_co_ci_u32_e32 v9, vcc_lo, 0, v9, vcc_lo
	v_and_b32_e32 v23, 7, v18
	s_wait_alu 0xf1ff
	v_cndmask_b32_e64 v21, 0, 1, s1
	v_cmp_ne_u32_e32 vcc_lo, 0, v1
	v_cmp_gt_i32_e64 s0, 1, v22
	v_lshrrev_b32_e32 v18, 2, v18
	v_cmp_gt_i32_e64 s1, 31, v16
	v_or_b32_e32 v20, v20, v21
	v_lshl_or_b32 v21, v22, 12, v10
	s_wait_alu 0xfffd
	v_cndmask_b32_e64 v1, 0, 1, vcc_lo
	v_cmp_lt_i32_e32 vcc_lo, 5, v23
	s_wait_alu 0xf1ff
	v_cndmask_b32_e64 v9, 0x7c00, v9, s1
	v_cmp_eq_u32_e64 s1, 0x40f, v16
	v_cndmask_b32_e64 v17, v21, v20, s0
	v_cmp_eq_u32_e64 s0, 3, v23
	v_lshl_or_b32 v1, v1, 9, 0x7c00
	s_delay_alu instid0(VALU_DEP_3) | instskip(NEXT) | instid1(VALU_DEP_3)
	v_and_b32_e32 v20, 7, v17
	s_or_b32 vcc_lo, s0, vcc_lo
	s_delay_alu instid0(VALU_DEP_2)
	v_cndmask_b32_e64 v1, v9, v1, s1
	s_wait_alu 0xfffe
	v_add_co_ci_u32_e32 v18, vcc_lo, 0, v18, vcc_lo
	v_cmp_ne_u32_e32 vcc_lo, 0, v5
	v_cmp_eq_u32_e64 s0, 3, v20
	v_lshrrev_b32_e32 v9, 2, v17
	v_cmp_gt_i32_e64 s1, 31, v19
	v_and_or_b32 v8, 0x8000, v2, v1
	s_wait_alu 0xfffd
	v_cndmask_b32_e64 v5, 0, 1, vcc_lo
	v_cmp_lt_i32_e32 vcc_lo, 5, v20
	s_wait_alu 0xf1ff
	v_cndmask_b32_e64 v16, 0x7c00, v18, s1
	s_delay_alu instid0(VALU_DEP_3)
	v_lshl_or_b32 v5, v5, 9, 0x7c00
	s_or_b32 vcc_lo, s0, vcc_lo
	s_wait_alu 0xfffe
	v_add_co_ci_u32_e32 v9, vcc_lo, 0, v9, vcc_lo
	v_cmp_ne_u32_e32 vcc_lo, 0, v10
	s_wait_alu 0xfffd
	v_cndmask_b32_e64 v10, 0, 1, vcc_lo
	v_cmp_eq_u32_e32 vcc_lo, 0x40f, v19
	s_delay_alu instid0(VALU_DEP_2) | instskip(SKIP_3) | instid1(VALU_DEP_2)
	v_lshl_or_b32 v10, v10, 9, 0x7c00
	s_wait_alu 0xfffd
	v_cndmask_b32_e32 v5, v16, v5, vcc_lo
	v_cmp_gt_i32_e32 vcc_lo, 31, v22
	v_and_or_b32 v5, 0x8000, v6, v5
	s_wait_alu 0xfffd
	v_cndmask_b32_e32 v9, 0x7c00, v9, vcc_lo
	v_cmp_eq_u32_e32 vcc_lo, 0x40f, v22
	s_wait_alu 0xfffd
	s_delay_alu instid0(VALU_DEP_2)
	v_cndmask_b32_e32 v6, v9, v10, vcc_lo
	v_lshrrev_b32_e32 v9, 16, v11
	v_add_co_u32 v1, vcc_lo, v12, s6
	s_wait_alu 0xfffd
	v_add_co_ci_u32_e32 v2, vcc_lo, s7, v13, vcc_lo
	v_lshl_or_b32 v10, v8, 16, v7
	v_and_or_b32 v7, 0x8000, v9, v6
	v_and_b32_e32 v8, 0xffff, v5
	v_add_co_u32 v5, vcc_lo, v1, s6
	s_wait_alu 0xfffd
	v_add_co_ci_u32_e32 v6, vcc_lo, s7, v2, vcc_lo
	s_delay_alu instid0(VALU_DEP_3) | instskip(NEXT) | instid1(VALU_DEP_3)
	v_lshl_or_b32 v9, v7, 16, v8
	v_add_co_u32 v7, vcc_lo, v5, s6
	s_wait_alu 0xfffd
	s_delay_alu instid0(VALU_DEP_3)
	v_add_co_ci_u32_e32 v8, vcc_lo, s7, v6, vcc_lo
	global_store_b32 v[3:4], v0, off
	global_store_b32 v[12:13], v15, off
	;; [unrolled: 1-line block ×5, first 2 shown]
.LBB0_2:
	s_nop 0
	s_sendmsg sendmsg(MSG_DEALLOC_VGPRS)
	s_endpgm
	.section	.rodata,"a",@progbits
	.p2align	6, 0x0
	.amdhsa_kernel bluestein_single_fwd_len5488_dim1_half_op_CI_CI
		.amdhsa_group_segment_fixed_size 21952
		.amdhsa_private_segment_fixed_size 204
		.amdhsa_kernarg_size 104
		.amdhsa_user_sgpr_count 2
		.amdhsa_user_sgpr_dispatch_ptr 0
		.amdhsa_user_sgpr_queue_ptr 0
		.amdhsa_user_sgpr_kernarg_segment_ptr 1
		.amdhsa_user_sgpr_dispatch_id 0
		.amdhsa_user_sgpr_private_segment_size 0
		.amdhsa_wavefront_size32 1
		.amdhsa_uses_dynamic_stack 0
		.amdhsa_enable_private_segment 1
		.amdhsa_system_sgpr_workgroup_id_x 1
		.amdhsa_system_sgpr_workgroup_id_y 0
		.amdhsa_system_sgpr_workgroup_id_z 0
		.amdhsa_system_sgpr_workgroup_info 0
		.amdhsa_system_vgpr_workitem_id 0
		.amdhsa_next_free_vgpr 256
		.amdhsa_next_free_sgpr 20
		.amdhsa_reserve_vcc 1
		.amdhsa_float_round_mode_32 0
		.amdhsa_float_round_mode_16_64 0
		.amdhsa_float_denorm_mode_32 3
		.amdhsa_float_denorm_mode_16_64 3
		.amdhsa_fp16_overflow 0
		.amdhsa_workgroup_processor_mode 1
		.amdhsa_memory_ordered 1
		.amdhsa_forward_progress 0
		.amdhsa_round_robin_scheduling 0
		.amdhsa_exception_fp_ieee_invalid_op 0
		.amdhsa_exception_fp_denorm_src 0
		.amdhsa_exception_fp_ieee_div_zero 0
		.amdhsa_exception_fp_ieee_overflow 0
		.amdhsa_exception_fp_ieee_underflow 0
		.amdhsa_exception_fp_ieee_inexact 0
		.amdhsa_exception_int_div_zero 0
	.end_amdhsa_kernel
	.text
.Lfunc_end0:
	.size	bluestein_single_fwd_len5488_dim1_half_op_CI_CI, .Lfunc_end0-bluestein_single_fwd_len5488_dim1_half_op_CI_CI
                                        ; -- End function
	.section	.AMDGPU.csdata,"",@progbits
; Kernel info:
; codeLenInByte = 56160
; NumSgprs: 22
; NumVgprs: 256
; ScratchSize: 204
; MemoryBound: 0
; FloatMode: 240
; IeeeMode: 1
; LDSByteSize: 21952 bytes/workgroup (compile time only)
; SGPRBlocks: 2
; VGPRBlocks: 31
; NumSGPRsForWavesPerEU: 22
; NumVGPRsForWavesPerEU: 256
; Occupancy: 5
; WaveLimiterHint : 1
; COMPUTE_PGM_RSRC2:SCRATCH_EN: 1
; COMPUTE_PGM_RSRC2:USER_SGPR: 2
; COMPUTE_PGM_RSRC2:TRAP_HANDLER: 0
; COMPUTE_PGM_RSRC2:TGID_X_EN: 1
; COMPUTE_PGM_RSRC2:TGID_Y_EN: 0
; COMPUTE_PGM_RSRC2:TGID_Z_EN: 0
; COMPUTE_PGM_RSRC2:TIDIG_COMP_CNT: 0
	.text
	.p2alignl 7, 3214868480
	.fill 96, 4, 3214868480
	.type	__hip_cuid_920006544abea1d5,@object ; @__hip_cuid_920006544abea1d5
	.section	.bss,"aw",@nobits
	.globl	__hip_cuid_920006544abea1d5
__hip_cuid_920006544abea1d5:
	.byte	0                               ; 0x0
	.size	__hip_cuid_920006544abea1d5, 1

	.ident	"AMD clang version 19.0.0git (https://github.com/RadeonOpenCompute/llvm-project roc-6.4.0 25133 c7fe45cf4b819c5991fe208aaa96edf142730f1d)"
	.section	".note.GNU-stack","",@progbits
	.addrsig
	.addrsig_sym __hip_cuid_920006544abea1d5
	.amdgpu_metadata
---
amdhsa.kernels:
  - .args:
      - .actual_access:  read_only
        .address_space:  global
        .offset:         0
        .size:           8
        .value_kind:     global_buffer
      - .actual_access:  read_only
        .address_space:  global
        .offset:         8
        .size:           8
        .value_kind:     global_buffer
      - .actual_access:  read_only
        .address_space:  global
        .offset:         16
        .size:           8
        .value_kind:     global_buffer
      - .actual_access:  read_only
        .address_space:  global
        .offset:         24
        .size:           8
        .value_kind:     global_buffer
      - .actual_access:  read_only
        .address_space:  global
        .offset:         32
        .size:           8
        .value_kind:     global_buffer
      - .offset:         40
        .size:           8
        .value_kind:     by_value
      - .address_space:  global
        .offset:         48
        .size:           8
        .value_kind:     global_buffer
      - .address_space:  global
        .offset:         56
        .size:           8
        .value_kind:     global_buffer
      - .address_space:  global
        .offset:         64
        .size:           8
        .value_kind:     global_buffer
      - .address_space:  global
        .offset:         72
        .size:           8
        .value_kind:     global_buffer
      - .offset:         80
        .size:           4
        .value_kind:     by_value
      - .address_space:  global
        .offset:         88
        .size:           8
        .value_kind:     global_buffer
      - .address_space:  global
        .offset:         96
        .size:           8
        .value_kind:     global_buffer
    .group_segment_fixed_size: 21952
    .kernarg_segment_align: 8
    .kernarg_segment_size: 104
    .language:       OpenCL C
    .language_version:
      - 2
      - 0
    .max_flat_workgroup_size: 196
    .name:           bluestein_single_fwd_len5488_dim1_half_op_CI_CI
    .private_segment_fixed_size: 204
    .sgpr_count:     22
    .sgpr_spill_count: 0
    .symbol:         bluestein_single_fwd_len5488_dim1_half_op_CI_CI.kd
    .uniform_work_group_size: 1
    .uses_dynamic_stack: false
    .vgpr_count:     256
    .vgpr_spill_count: 50
    .wavefront_size: 32
    .workgroup_processor_mode: 1
amdhsa.target:   amdgcn-amd-amdhsa--gfx1201
amdhsa.version:
  - 1
  - 2
...

	.end_amdgpu_metadata
